;; amdgpu-corpus repo=ROCm/rocFFT kind=compiled arch=gfx906 opt=O3
	.text
	.amdgcn_target "amdgcn-amd-amdhsa--gfx906"
	.amdhsa_code_object_version 6
	.protected	bluestein_single_back_len5488_dim1_sp_op_CI_CI ; -- Begin function bluestein_single_back_len5488_dim1_sp_op_CI_CI
	.globl	bluestein_single_back_len5488_dim1_sp_op_CI_CI
	.p2align	8
	.type	bluestein_single_back_len5488_dim1_sp_op_CI_CI,@function
bluestein_single_back_len5488_dim1_sp_op_CI_CI: ; @bluestein_single_back_len5488_dim1_sp_op_CI_CI
; %bb.0:
	s_load_dwordx4 s[12:15], s[4:5], 0x28
	s_mov_b64 s[26:27], s[2:3]
	v_mul_u32_u24_e32 v3, 0x14f, v0
	s_mov_b64 s[24:25], s[0:1]
	v_add_u32_sdwa v1, s6, v3 dst_sel:DWORD dst_unused:UNUSED_PAD src0_sel:DWORD src1_sel:WORD_1
	v_mov_b32_e32 v2, 0
	s_add_u32 s24, s24, s7
	s_waitcnt lgkmcnt(0)
	v_cmp_gt_u64_e32 vcc, s[12:13], v[1:2]
	s_addc_u32 s25, s25, 0
	s_and_saveexec_b64 s[0:1], vcc
	s_cbranch_execz .LBB0_2
; %bb.1:
	s_load_dwordx4 s[8:11], s[4:5], 0x0
	s_load_dwordx4 s[20:23], s[4:5], 0x18
	s_load_dwordx2 s[12:13], s[4:5], 0x38
	s_movk_i32 s16, 0xc4
	v_mul_lo_u16_sdwa v2, v3, s16 dst_sel:DWORD dst_unused:UNUSED_PAD src0_sel:WORD_1 src1_sel:DWORD
	v_sub_u16_e32 v210, v0, v2
	s_waitcnt lgkmcnt(0)
	s_load_dwordx4 s[0:3], s[22:23], 0x0
	v_lshlrev_b32_e32 v211, 3, v210
	s_movk_i32 s17, 0x188
                                        ; kill: killed $sgpr8_sgpr9
	v_add_u32_e32 v212, 0xc00, v211
	v_mov_b32_e32 v118, s11
	s_waitcnt lgkmcnt(0)
	v_mad_u64_u32 v[4:5], s[4:5], s2, v1, 0
	v_add_u16_e32 v121, 0x310, v210
	v_add_u16_e32 v119, 0x3d4, v210
	v_mov_b32_e32 v0, v5
	v_mad_u64_u32 v[2:3], s[2:3], s3, v1, v[0:1]
	v_add_u16_e32 v120, 0x498, v210
	v_mov_b32_e32 v5, v2
	buffer_store_dword v4, off, s[24:27], 0 offset:176 ; 4-byte Folded Spill
	s_nop 0
	buffer_store_dword v5, off, s[24:27], 0 offset:180 ; 4-byte Folded Spill
	s_load_dwordx4 s[4:7], s[20:21], 0x0
	s_waitcnt lgkmcnt(0)
	v_mad_u64_u32 v[2:3], s[2:3], s6, v1, 0
	s_movk_i32 s6, 0x4000
	v_mov_b32_e32 v0, v3
	v_mad_u64_u32 v[0:1], s[2:3], s7, v1, v[0:1]
	s_movk_i32 s7, 0x3000
	v_mov_b32_e32 v3, v0
	v_mad_u64_u32 v[0:1], s[2:3], s4, v210, 0
	v_mad_u64_u32 v[4:5], s[2:3], s5, v210, v[1:2]
	v_lshlrev_b64 v[2:3], 3, v[2:3]
	s_mul_i32 s2, s5, 0x1880
	v_mov_b32_e32 v1, v4
	v_add_co_u32_e32 v2, vcc, s14, v2
	v_mov_b32_e32 v4, s15
	v_lshlrev_b64 v[0:1], 3, v[0:1]
	v_addc_co_u32_e32 v3, vcc, v4, v3, vcc
	v_add_co_u32_e32 v0, vcc, v2, v0
	v_addc_co_u32_e32 v1, vcc, v3, v1, vcc
	v_add_co_u32_e32 v28, vcc, s8, v211
	v_mov_b32_e32 v4, s9
	v_addc_co_u32_e32 v217, vcc, 0, v4, vcc
	global_load_dwordx2 v[4:5], v211, s[8:9]
	global_load_dwordx2 v[2:3], v[0:1], off
	s_mul_hi_u32 s3, s4, 0x1880
	s_add_i32 s2, s3, s2
	s_mul_i32 s3, s4, 0x1880
	v_add_co_u32_e32 v0, vcc, s3, v0
	s_movk_i32 s14, 0x1000
	s_movk_i32 s15, 0x7000
	s_mul_i32 s5, s5, 0xffff7320
	s_waitcnt vmcnt(1)
	buffer_store_dword v4, off, s[24:27], 0 offset:324 ; 4-byte Folded Spill
	s_nop 0
	buffer_store_dword v5, off, s[24:27], 0 offset:328 ; 4-byte Folded Spill
	s_waitcnt vmcnt(2)
	v_mul_f32_e32 v6, v3, v5
	v_fmac_f32_e32 v6, v2, v4
	v_mul_f32_e32 v2, v2, v5
	v_fma_f32 v7, v3, v4, -v2
	v_mov_b32_e32 v2, s2
	v_addc_co_u32_e32 v1, vcc, v1, v2, vcc
	v_add_co_u32_e32 v4, vcc, s14, v28
	v_addc_co_u32_e32 v5, vcc, 0, v217, vcc
	global_load_dwordx2 v[9:10], v[4:5], off offset:2176
	global_load_dwordx2 v[2:3], v[0:1], off
	v_add_co_u32_e32 v0, vcc, s3, v0
                                        ; kill: killed $vgpr4 killed $vgpr5
	s_waitcnt vmcnt(1)
	buffer_store_dword v9, off, s[24:27], 0 offset:316 ; 4-byte Folded Spill
	s_nop 0
	buffer_store_dword v10, off, s[24:27], 0 offset:320 ; 4-byte Folded Spill
	s_waitcnt vmcnt(2)
	v_mul_f32_e32 v8, v3, v10
	v_fmac_f32_e32 v8, v2, v9
	v_mul_f32_e32 v2, v2, v10
	v_fma_f32 v9, v3, v9, -v2
	v_mov_b32_e32 v2, s2
	v_addc_co_u32_e32 v1, vcc, v1, v2, vcc
	ds_write_b64 v211, v[8:9] offset:6272
	v_add_co_u32_e32 v8, vcc, s7, v28
	v_addc_co_u32_e32 v9, vcc, 0, v217, vcc
	global_load_dwordx2 v[11:12], v[8:9], off offset:256
	global_load_dwordx2 v[2:3], v[0:1], off
	v_add_co_u32_e32 v0, vcc, s3, v0
                                        ; kill: killed $vgpr8 killed $vgpr9
	s_waitcnt vmcnt(1)
	buffer_store_dword v11, off, s[24:27], 0 offset:208 ; 4-byte Folded Spill
	s_nop 0
	buffer_store_dword v12, off, s[24:27], 0 offset:212 ; 4-byte Folded Spill
	s_waitcnt vmcnt(2)
	v_mul_f32_e32 v10, v3, v12
	v_fmac_f32_e32 v10, v2, v11
	v_mul_f32_e32 v2, v2, v12
	v_fma_f32 v11, v3, v11, -v2
	v_mov_b32_e32 v2, s2
	v_addc_co_u32_e32 v1, vcc, v1, v2, vcc
	v_add_co_u32_e32 v2, vcc, s6, v28
	v_addc_co_u32_e32 v3, vcc, 0, v217, vcc
	global_load_dwordx2 v[13:14], v[2:3], off offset:2432
	ds_write_b64 v211, v[10:11] offset:12544
	global_load_dwordx2 v[10:11], v[0:1], off
	v_add_co_u32_e32 v0, vcc, s3, v0
	s_movk_i32 s6, 0x6000
                                        ; kill: killed $vgpr2 killed $vgpr3
	s_waitcnt vmcnt(1)
	buffer_store_dword v13, off, s[24:27], 0 offset:200 ; 4-byte Folded Spill
	s_nop 0
	buffer_store_dword v14, off, s[24:27], 0 offset:204 ; 4-byte Folded Spill
	s_waitcnt vmcnt(2)
	v_mul_f32_e32 v12, v11, v14
	v_fmac_f32_e32 v12, v10, v13
	v_mul_f32_e32 v10, v10, v14
	v_fma_f32 v13, v11, v13, -v10
	v_mov_b32_e32 v10, s2
	v_addc_co_u32_e32 v1, vcc, v1, v10, vcc
	ds_write_b64 v211, v[12:13] offset:18816
	v_add_co_u32_e32 v12, vcc, s6, v28
	v_addc_co_u32_e32 v13, vcc, 0, v217, vcc
	global_load_dwordx2 v[15:16], v[12:13], off offset:512
	global_load_dwordx2 v[10:11], v[0:1], off
                                        ; kill: killed $vgpr12 killed $vgpr13
	s_waitcnt vmcnt(1)
	buffer_store_dword v15, off, s[24:27], 0 offset:192 ; 4-byte Folded Spill
	s_nop 0
	buffer_store_dword v16, off, s[24:27], 0 offset:196 ; 4-byte Folded Spill
	s_waitcnt vmcnt(2)
	v_mul_f32_e32 v14, v11, v16
	v_fmac_f32_e32 v14, v10, v15
	v_mul_f32_e32 v10, v10, v16
	v_fma_f32 v15, v11, v15, -v10
	v_add_co_u32_e32 v10, vcc, s3, v0
	v_mov_b32_e32 v0, s2
	v_addc_co_u32_e32 v11, vcc, v1, v0, vcc
	v_add_co_u32_e32 v0, vcc, s15, v28
	v_addc_co_u32_e32 v1, vcc, 0, v217, vcc
	global_load_dwordx2 v[17:18], v[0:1], off offset:2688
	ds_write_b64 v211, v[14:15] offset:25088
	global_load_dwordx2 v[14:15], v[10:11], off
	v_add_co_u32_e32 v10, vcc, s3, v10
	s_mov_b32 s15, 0x9000
                                        ; kill: killed $vgpr0 killed $vgpr1
	s_waitcnt vmcnt(1)
	buffer_store_dword v17, off, s[24:27], 0 offset:168 ; 4-byte Folded Spill
	s_nop 0
	buffer_store_dword v18, off, s[24:27], 0 offset:172 ; 4-byte Folded Spill
	s_waitcnt vmcnt(2)
	v_mul_f32_e32 v16, v15, v18
	v_fmac_f32_e32 v16, v14, v17
	v_mul_f32_e32 v14, v14, v18
	v_fma_f32 v17, v15, v17, -v14
	v_mov_b32_e32 v14, s2
	v_addc_co_u32_e32 v11, vcc, v11, v14, vcc
	ds_write_b64 v211, v[16:17] offset:31360
	v_add_co_u32_e32 v16, vcc, s15, v28
	v_addc_co_u32_e32 v17, vcc, 0, v217, vcc
	global_load_dwordx2 v[19:20], v[16:17], off offset:768
	global_load_dwordx2 v[14:15], v[10:11], off
	s_mul_hi_u32 s15, s4, 0xffff7320
	s_sub_i32 s15, s15, s4
	v_add_co_u32_e32 v32, vcc, s16, v210
	s_add_i32 s5, s15, s5
	s_mul_i32 s4, s4, 0xffff7320
	v_add_co_u32_e32 v10, vcc, s4, v10
	s_mov_b32 s15, 0x8000
                                        ; kill: killed $vgpr16 killed $vgpr17
	s_waitcnt vmcnt(1)
	buffer_store_dword v19, off, s[24:27], 0 offset:160 ; 4-byte Folded Spill
	s_nop 0
	buffer_store_dword v20, off, s[24:27], 0 offset:164 ; 4-byte Folded Spill
	s_waitcnt vmcnt(2)
	v_mul_f32_e32 v18, v15, v20
	v_fmac_f32_e32 v18, v14, v19
	v_mul_f32_e32 v14, v14, v20
	v_fma_f32 v19, v15, v19, -v14
	v_mov_b32_e32 v14, s5
	ds_write_b64 v211, v[18:19] offset:37632
	v_addc_co_u32_e32 v11, vcc, v11, v14, vcc
	global_load_dwordx2 v[14:15], v[10:11], off
	global_load_dwordx2 v[19:20], v211, s[8:9] offset:1568
	s_waitcnt vmcnt(0)
	buffer_store_dword v19, off, s[24:27], 0 offset:152 ; 4-byte Folded Spill
	s_nop 0
	buffer_store_dword v20, off, s[24:27], 0 offset:156 ; 4-byte Folded Spill
	v_mul_f32_e32 v18, v15, v20
	v_fmac_f32_e32 v18, v14, v19
	v_mul_f32_e32 v14, v14, v20
	v_fma_f32 v19, v15, v19, -v14
	ds_write2_b64 v211, v[6:7], v[18:19] offset1:196
	v_add_co_u32_e32 v6, vcc, s3, v10
	v_mov_b32_e32 v7, s2
	v_addc_co_u32_e32 v7, vcc, v11, v7, vcc
	global_load_dwordx2 v[10:11], v[6:7], off
	global_load_dwordx2 v[18:19], v[4:5], off offset:3744
	v_add_co_u32_e32 v6, vcc, s3, v6
	s_waitcnt vmcnt(0)
	buffer_store_dword v18, off, s[24:27], 0 offset:144 ; 4-byte Folded Spill
	s_nop 0
	buffer_store_dword v19, off, s[24:27], 0 offset:148 ; 4-byte Folded Spill
	v_mul_f32_e32 v14, v11, v19
	v_fmac_f32_e32 v14, v10, v18
	v_mul_f32_e32 v10, v10, v19
	v_fma_f32 v15, v11, v18, -v10
	v_mov_b32_e32 v10, s2
	v_addc_co_u32_e32 v7, vcc, v7, v10, vcc
	global_load_dwordx2 v[10:11], v[6:7], off
	global_load_dwordx2 v[19:20], v[8:9], off offset:1824
	v_add_co_u32_e32 v6, vcc, s3, v6
	s_waitcnt vmcnt(0)
	buffer_store_dword v19, off, s[24:27], 0 offset:136 ; 4-byte Folded Spill
	s_nop 0
	buffer_store_dword v20, off, s[24:27], 0 offset:140 ; 4-byte Folded Spill
	v_mul_f32_e32 v18, v11, v20
	v_fmac_f32_e32 v18, v10, v19
	v_mul_f32_e32 v10, v10, v20
	v_fma_f32 v19, v11, v19, -v10
	;; [unrolled: 13-line block ×3, first 2 shown]
	v_mov_b32_e32 v10, s2
	v_addc_co_u32_e32 v7, vcc, v7, v10, vcc
	global_load_dwordx2 v[10:11], v[6:7], off
	global_load_dwordx2 v[23:24], v[12:13], off offset:2080
	s_waitcnt vmcnt(0)
	buffer_store_dword v23, off, s[24:27], 0 offset:104 ; 4-byte Folded Spill
	s_nop 0
	buffer_store_dword v24, off, s[24:27], 0 offset:108 ; 4-byte Folded Spill
	v_mul_f32_e32 v22, v11, v24
	v_fmac_f32_e32 v22, v10, v23
	v_mul_f32_e32 v10, v10, v24
	v_fma_f32 v23, v11, v23, -v10
	v_add_co_u32_e32 v10, vcc, s3, v6
	v_mov_b32_e32 v6, s2
	v_addc_co_u32_e32 v11, vcc, v7, v6, vcc
	v_add_co_u32_e32 v6, vcc, s15, v28
	v_addc_co_u32_e32 v7, vcc, 0, v217, vcc
	global_load_dwordx2 v[29:30], v[6:7], off offset:160
	global_load_dwordx2 v[24:25], v[10:11], off
	v_add_co_u32_e32 v10, vcc, s3, v10
                                        ; kill: killed $vgpr6 killed $vgpr7
	s_waitcnt vmcnt(1)
	buffer_store_dword v29, off, s[24:27], 0 offset:96 ; 4-byte Folded Spill
	s_nop 0
	buffer_store_dword v30, off, s[24:27], 0 offset:100 ; 4-byte Folded Spill
	s_waitcnt vmcnt(2)
	v_mul_f32_e32 v26, v25, v30
	v_fmac_f32_e32 v26, v24, v29
	v_mul_f32_e32 v24, v24, v30
	v_fma_f32 v27, v25, v29, -v24
	v_mov_b32_e32 v24, s2
	v_addc_co_u32_e32 v11, vcc, v11, v24, vcc
	global_load_dwordx2 v[24:25], v[10:11], off
	global_load_dwordx2 v[29:30], v[16:17], off offset:2336
	v_add_co_u32_e32 v116, vcc, s17, v210
	v_add_co_u32_e32 v10, vcc, s4, v10
	s_waitcnt vmcnt(0)
	v_mov_b32_e32 v31, v30
	v_mov_b32_e32 v30, v29
	buffer_store_dword v30, off, s[24:27], 0 offset:128 ; 4-byte Folded Spill
	s_nop 0
	buffer_store_dword v31, off, s[24:27], 0 offset:132 ; 4-byte Folded Spill
	v_mul_f32_e32 v29, v25, v31
	v_fmac_f32_e32 v29, v24, v30
	v_mul_f32_e32 v24, v24, v31
	v_fma_f32 v30, v25, v30, -v24
	v_mov_b32_e32 v24, s5
	v_addc_co_u32_e32 v11, vcc, v11, v24, vcc
	global_load_dwordx2 v[24:25], v[10:11], off
	global_load_dwordx2 v[34:35], v211, s[8:9] offset:3136
	v_add_co_u32_e32 v10, vcc, s3, v10
	s_waitcnt vmcnt(0)
	buffer_store_dword v34, off, s[24:27], 0 offset:112 ; 4-byte Folded Spill
	s_nop 0
	buffer_store_dword v35, off, s[24:27], 0 offset:116 ; 4-byte Folded Spill
	s_movk_i32 s8, 0x2000
	v_mul_f32_e32 v33, v25, v35
	v_fmac_f32_e32 v33, v24, v34
	v_mul_f32_e32 v24, v24, v35
	v_fma_f32 v34, v25, v34, -v24
	v_mov_b32_e32 v24, s2
	v_addc_co_u32_e32 v11, vcc, v11, v24, vcc
	v_add_co_u32_e32 v35, vcc, s8, v28
	v_addc_co_u32_e32 v36, vcc, 0, v217, vcc
	global_load_dwordx2 v[38:39], v[35:36], off offset:1216
	global_load_dwordx2 v[24:25], v[10:11], off
	s_waitcnt vmcnt(1)
	buffer_store_dword v38, off, s[24:27], 0 offset:88 ; 4-byte Folded Spill
	s_nop 0
	buffer_store_dword v39, off, s[24:27], 0 offset:92 ; 4-byte Folded Spill
	v_add_co_u32_e32 v10, vcc, s3, v10
	s_movk_i32 s8, 0x5000
                                        ; kill: killed $vgpr35 killed $vgpr36
	s_waitcnt vmcnt(2)
	v_mul_f32_e32 v37, v25, v39
	v_fmac_f32_e32 v37, v24, v38
	v_mul_f32_e32 v24, v24, v39
	v_fma_f32 v38, v25, v38, -v24
	v_add_u32_e32 v24, 0x1e00, v211
	ds_write2_b64 v24, v[14:15], v[37:38] offset0:20 offset1:216
	v_mov_b32_e32 v14, s2
	v_addc_co_u32_e32 v11, vcc, v11, v14, vcc
	global_load_dwordx2 v[14:15], v[10:11], off
	global_load_dwordx2 v[24:25], v[8:9], off offset:3392
	s_waitcnt vmcnt(0)
	buffer_store_dword v24, off, s[24:27], 0 offset:80 ; 4-byte Folded Spill
	s_nop 0
	buffer_store_dword v25, off, s[24:27], 0 offset:84 ; 4-byte Folded Spill
	v_mul_f32_e32 v8, v15, v25
	v_mul_f32_e32 v9, v14, v25
	v_fmac_f32_e32 v8, v14, v24
	v_fma_f32 v9, v15, v24, -v9
	v_add_u32_e32 v14, 0x3600, v211
	ds_write2_b64 v14, v[18:19], v[8:9] offset0:36 offset1:232
	v_add_co_u32_e32 v8, vcc, s3, v10
	v_mov_b32_e32 v9, s2
	v_addc_co_u32_e32 v9, vcc, v11, v9, vcc
	v_add_co_u32_e32 v14, vcc, s8, v28
	v_addc_co_u32_e32 v15, vcc, 0, v217, vcc
	global_load_dwordx2 v[24:25], v[14:15], off offset:1472
	global_load_dwordx2 v[10:11], v[8:9], off
	s_waitcnt vmcnt(1)
	buffer_store_dword v24, off, s[24:27], 0 offset:56 ; 4-byte Folded Spill
	s_nop 0
	buffer_store_dword v25, off, s[24:27], 0 offset:60 ; 4-byte Folded Spill
	v_add_co_u32_e32 v8, vcc, s3, v8
	s_movk_i32 s8, 0x24c
                                        ; kill: killed $vgpr14 killed $vgpr15
	s_waitcnt vmcnt(2)
	v_mul_f32_e32 v18, v11, v25
	v_fmac_f32_e32 v18, v10, v24
	v_mul_f32_e32 v10, v10, v25
	v_fma_f32 v19, v11, v24, -v10
	v_add_u32_e32 v10, 0x4e00, v211
	ds_write2_b64 v10, v[20:21], v[18:19] offset0:52 offset1:248
	v_mov_b32_e32 v10, s2
	v_addc_co_u32_e32 v9, vcc, v9, v10, vcc
	global_load_dwordx2 v[10:11], v[8:9], off
	global_load_dwordx2 v[18:19], v[12:13], off offset:3648
	s_waitcnt vmcnt(0)
	buffer_store_dword v18, off, s[24:27], 0 offset:16 ; 4-byte Folded Spill
	s_nop 0
	buffer_store_dword v19, off, s[24:27], 0 offset:20 ; 4-byte Folded Spill
	v_add_co_u32_e32 v8, vcc, s3, v8
	v_add_u32_e32 v20, 0x6200, v211
	v_add_u32_e32 v24, 0x7a00, v211
	v_mov_b32_e32 v69, v20
	v_mov_b32_e32 v71, v24
	;; [unrolled: 1-line block ×4, first 2 shown]
	v_mul_f32_e32 v12, v11, v19
	v_fmac_f32_e32 v12, v10, v18
	v_mul_f32_e32 v10, v10, v19
	v_fma_f32 v13, v11, v18, -v10
	v_add_u32_e32 v10, 0x6800, v211
	ds_write2_b64 v10, v[22:23], v[12:13] offset0:4 offset1:200
	v_mov_b32_e32 v10, s2
	v_addc_co_u32_e32 v9, vcc, v9, v10, vcc
	global_load_dwordx2 v[10:11], v[8:9], off
	global_load_dwordx2 v[18:19], v[6:7], off offset:1728
	s_waitcnt vmcnt(0)
	buffer_store_dword v18, off, s[24:27], 0 offset:8 ; 4-byte Folded Spill
	s_nop 0
	buffer_store_dword v19, off, s[24:27], 0 offset:12 ; 4-byte Folded Spill
	v_add_co_u32_e32 v8, vcc, s3, v8
	v_mul_f32_e32 v12, v11, v19
	v_fmac_f32_e32 v12, v10, v18
	v_mul_f32_e32 v10, v10, v19
	v_fma_f32 v13, v11, v18, -v10
	v_add_u32_e32 v10, 0x8000, v211
	ds_write2_b64 v10, v[26:27], v[12:13] offset0:20 offset1:216
	v_mov_b32_e32 v10, s2
	v_addc_co_u32_e32 v9, vcc, v9, v10, vcc
	global_load_dwordx2 v[10:11], v[8:9], off
	global_load_dwordx2 v[18:19], v[16:17], off offset:3904
	s_waitcnt vmcnt(0)
	buffer_store_dword v18, off, s[24:27], 0 ; 4-byte Folded Spill
	s_nop 0
	buffer_store_dword v19, off, s[24:27], 0 offset:4 ; 4-byte Folded Spill
	v_add_co_u32_e32 v117, vcc, s8, v210
	v_add_co_u32_e32 v8, vcc, s4, v8
	v_add_u32_e32 v16, 0x4800, v211
	v_mov_b32_e32 v31, v16
	s_mov_b32 s4, 0x3f3bfb3b
	v_mov_b32_e32 v130, v31
	v_mov_b32_e32 v152, v130
	v_mul_f32_e32 v12, v11, v19
	v_fmac_f32_e32 v12, v10, v18
	v_mul_f32_e32 v10, v10, v19
	v_fma_f32 v13, v11, v18, -v10
	v_add_u32_e32 v10, 0x9800, v211
	ds_write2_b64 v10, v[29:30], v[12:13] offset0:36 offset1:232
	v_mov_b32_e32 v10, s5
	v_addc_co_u32_e32 v9, vcc, v9, v10, vcc
	global_load_dwordx2 v[10:11], v[8:9], off
	global_load_dwordx2 v[12:13], v[4:5], off offset:608
	s_waitcnt vmcnt(0)
	buffer_store_dword v12, off, s[24:27], 0 offset:72 ; 4-byte Folded Spill
	s_nop 0
	buffer_store_dword v13, off, s[24:27], 0 offset:76 ; 4-byte Folded Spill
	v_add_u32_e32 v29, 0x9200, v211
	v_mov_b32_e32 v76, v29
	s_mov_b32 s5, 0x3f5ff5aa
	v_mov_b32_e32 v129, v76
	v_mov_b32_e32 v151, v129
	v_mul_f32_e32 v4, v11, v13
	v_mul_f32_e32 v5, v10, v13
	v_fmac_f32_e32 v4, v10, v12
	v_fma_f32 v5, v11, v12, -v5
	ds_write2_b64 v212, v[33:34], v[4:5] offset0:8 offset1:204
	v_add_co_u32_e32 v4, vcc, s3, v8
	v_mov_b32_e32 v5, s2
	v_addc_co_u32_e32 v5, vcc, v9, v5, vcc
	global_load_dwordx2 v[8:9], v[4:5], off
	global_load_dwordx2 v[11:12], v[35:36], off offset:2784
	s_waitcnt vmcnt(0)
	buffer_store_dword v11, off, s[24:27], 0 offset:32 ; 4-byte Folded Spill
	s_nop 0
	buffer_store_dword v12, off, s[24:27], 0 offset:36 ; 4-byte Folded Spill
	v_add_co_u32_e32 v4, vcc, s3, v4
	v_mul_f32_e32 v10, v9, v12
	v_fmac_f32_e32 v10, v8, v11
	v_mul_f32_e32 v8, v8, v12
	v_fma_f32 v11, v9, v11, -v8
	v_mov_b32_e32 v8, s2
	ds_write_b64 v211, v[10:11] offset:10976
	v_addc_co_u32_e32 v5, vcc, v5, v8, vcc
	global_load_dwordx2 v[8:9], v[4:5], off
	global_load_dwordx2 v[10:11], v[2:3], off offset:864
	s_waitcnt vmcnt(0)
	buffer_store_dword v10, off, s[24:27], 0 offset:48 ; 4-byte Folded Spill
	s_nop 0
	buffer_store_dword v11, off, s[24:27], 0 offset:52 ; 4-byte Folded Spill
	v_add_u32_e32 v12, 0x3000, v211
	v_mov_b32_e32 v70, v12
	v_mov_b32_e32 v115, v70
	v_mul_f32_e32 v2, v9, v11
	v_mul_f32_e32 v3, v8, v11
	v_fmac_f32_e32 v2, v8, v10
	v_fma_f32 v3, v9, v10, -v3
	ds_write_b64 v211, v[2:3] offset:17248
	v_add_co_u32_e32 v2, vcc, s3, v4
	v_mov_b32_e32 v3, s2
	v_addc_co_u32_e32 v3, vcc, v5, v3, vcc
	global_load_dwordx2 v[4:5], v[2:3], off
	global_load_dwordx2 v[9:10], v[14:15], off offset:3040
	s_waitcnt vmcnt(0)
	buffer_store_dword v9, off, s[24:27], 0 offset:24 ; 4-byte Folded Spill
	s_nop 0
	buffer_store_dword v10, off, s[24:27], 0 offset:28 ; 4-byte Folded Spill
	v_add_co_u32_e32 v2, vcc, s3, v2
	v_mul_f32_e32 v8, v5, v10
	v_fmac_f32_e32 v8, v4, v9
	v_mul_f32_e32 v4, v4, v10
	v_fma_f32 v9, v5, v9, -v4
	v_mov_b32_e32 v4, s2
	ds_write_b64 v211, v[8:9] offset:23520
	v_addc_co_u32_e32 v3, vcc, v3, v4, vcc
	global_load_dwordx2 v[4:5], v[2:3], off
	global_load_dwordx2 v[8:9], v[0:1], off offset:1120
	s_waitcnt vmcnt(0)
	buffer_store_dword v8, off, s[24:27], 0 offset:40 ; 4-byte Folded Spill
	s_nop 0
	buffer_store_dword v9, off, s[24:27], 0 offset:44 ; 4-byte Folded Spill
	v_mul_f32_e32 v0, v5, v9
	v_mul_f32_e32 v1, v4, v9
	v_fmac_f32_e32 v0, v4, v8
	v_fma_f32 v1, v5, v8, -v1
	ds_write_b64 v211, v[0:1] offset:29792
	v_add_co_u32_e32 v0, vcc, s3, v2
	v_mov_b32_e32 v1, s2
	v_addc_co_u32_e32 v1, vcc, v3, v1, vcc
	global_load_dwordx2 v[2:3], v[0:1], off
	global_load_dwordx2 v[8:9], v[6:7], off offset:3296
	s_waitcnt vmcnt(0)
	buffer_store_dword v8, off, s[24:27], 0 offset:64 ; 4-byte Folded Spill
	s_nop 0
	buffer_store_dword v9, off, s[24:27], 0 offset:68 ; 4-byte Folded Spill
	v_add_co_u32_e32 v0, vcc, s3, v0
	s_mov_b32 s3, 0xbf3bfb3b
	v_mul_f32_e32 v4, v3, v9
	v_fmac_f32_e32 v4, v2, v8
	v_mul_f32_e32 v2, v2, v9
	v_fma_f32 v5, v3, v8, -v2
	v_mov_b32_e32 v2, s2
	v_addc_co_u32_e32 v1, vcc, v1, v2, vcc
	s_mov_b32 s2, 0xa000
	v_add_co_u32_e32 v228, vcc, s2, v28
	v_addc_co_u32_e32 v229, vcc, 0, v217, vcc
	global_load_dwordx2 v[2:3], v[228:229], off offset:1376
	ds_write_b64 v211, v[4:5] offset:36064
	global_load_dwordx2 v[0:1], v[0:1], off
	v_add_u32_e32 v8, 0x1800, v211
	v_mov_b32_e32 v157, v8
	s_mov_b32 s2, 0xbf5ff5aa
	s_waitcnt vmcnt(1)
	v_mov_b32_e32 v4, v3
	v_mov_b32_e32 v3, v2
	s_waitcnt vmcnt(0)
	v_mul_f32_e32 v2, v1, v4
	v_fmac_f32_e32 v2, v0, v3
	v_mul_f32_e32 v0, v0, v4
	buffer_store_dword v3, off, s[24:27], 0 offset:184 ; 4-byte Folded Spill
	s_nop 0
	buffer_store_dword v4, off, s[24:27], 0 offset:188 ; 4-byte Folded Spill
	v_fma_f32 v3, v1, v3, -v0
	ds_write_b64 v211, v[2:3] offset:42336
	s_waitcnt vmcnt(0) lgkmcnt(0)
	s_barrier
	ds_read2_b64 v[4:7], v8 offset0:16 offset1:212
	ds_read2_b64 v[8:11], v12 offset0:32 offset1:228
	;; [unrolled: 1-line block ×3, first 2 shown]
	ds_read2_b64 v[16:19], v20 offset1:196
	ds_read2_b64 v[20:23], v24 offset0:16 offset1:212
	ds_read2_b64 v[24:27], v29 offset0:32 offset1:228
	v_add_u32_e32 v29, 0x2400, v211
	ds_read2_b64 v[37:40], v29 offset0:24 offset1:220
	v_mov_b32_e32 v158, v29
	v_add_u32_e32 v29, 0x3c00, v211
	ds_read2_b64 v[41:44], v29 offset0:40 offset1:236
	v_mov_b32_e32 v74, v29
	;; [unrolled: 3-line block ×3, first 2 shown]
	v_add_u32_e32 v29, 0x6e00, v211
	ds_read2_b64 v[0:3], v211 offset1:196
	ds_read2_b64 v[49:52], v29 offset0:8 offset1:204
	v_mov_b32_e32 v81, v29
	v_add_u32_e32 v29, 0x8600, v211
	ds_read2_b64 v[53:56], v29 offset0:24 offset1:220
	v_mov_b32_e32 v72, v29
	v_add_u32_e32 v29, 0x9e00, v211
	ds_read2_b64 v[57:60], v29 offset0:40 offset1:236
	v_mov_b32_e32 v80, v29
	s_waitcnt lgkmcnt(7)
	v_add_f32_e32 v29, v4, v24
	v_sub_f32_e32 v4, v4, v24
	v_add_f32_e32 v24, v8, v20
	v_add_f32_e32 v30, v5, v25
	v_sub_f32_e32 v5, v5, v25
	v_add_f32_e32 v25, v9, v21
	v_sub_f32_e32 v8, v8, v20
	;; [unrolled: 2-line block ×5, first 2 shown]
	v_add_f32_e32 v17, v25, v30
	v_add_f32_e32 v16, v20, v16
	;; [unrolled: 1-line block ×3, first 2 shown]
	s_waitcnt lgkmcnt(3)
	v_add_f32_e32 v0, v0, v16
	v_sub_f32_e32 v61, v24, v29
	v_sub_f32_e32 v62, v25, v30
	;; [unrolled: 1-line block ×6, first 2 shown]
	v_add_f32_e32 v1, v1, v17
	v_mov_b32_e32 v67, v0
	v_mul_f32_e32 v20, 0x3f4a47b2, v29
	v_mul_f32_e32 v21, 0x3f4a47b2, v30
	;; [unrolled: 1-line block ×4, first 2 shown]
	v_fmac_f32_e32 v67, 0xbf955555, v16
	v_mov_b32_e32 v16, v1
	v_fmac_f32_e32 v16, 0xbf955555, v17
	v_fma_f32 v17, v61, s4, -v29
	v_fma_f32 v29, v62, s4, -v30
	;; [unrolled: 1-line block ×3, first 2 shown]
	v_fmac_f32_e32 v20, 0x3d64c772, v24
	v_add_f32_e32 v63, v12, v8
	v_add_f32_e32 v64, v13, v9
	v_sub_f32_e32 v65, v12, v8
	v_sub_f32_e32 v66, v13, v9
	;; [unrolled: 1-line block ×4, first 2 shown]
	v_fma_f32 v24, v62, s3, -v21
	v_fmac_f32_e32 v21, 0x3d64c772, v25
	v_add_f32_e32 v62, v20, v67
	v_add_f32_e32 v20, v29, v16
	;; [unrolled: 1-line block ×3, first 2 shown]
	v_sub_f32_e32 v6, v6, v26
	v_add_f32_e32 v26, v10, v22
	v_sub_f32_e32 v12, v4, v12
	v_sub_f32_e32 v13, v5, v13
	v_add_f32_e32 v4, v63, v4
	v_add_f32_e32 v5, v64, v5
	v_mul_f32_e32 v63, 0xbf08b237, v65
	v_mul_f32_e32 v64, 0xbf08b237, v66
	;; [unrolled: 1-line block ×4, first 2 shown]
	v_add_f32_e32 v68, v21, v16
	v_add_f32_e32 v21, v30, v67
	;; [unrolled: 1-line block ×3, first 2 shown]
	v_sub_f32_e32 v7, v7, v27
	v_add_f32_e32 v27, v11, v23
	v_sub_f32_e32 v10, v10, v22
	v_add_f32_e32 v22, v14, v18
	;; [unrolled: 2-line block ×3, first 2 shown]
	v_fma_f32 v25, v8, s5, -v63
	v_fma_f32 v61, v9, s5, -v64
	v_fmac_f32_e32 v64, 0x3eae86e6, v13
	v_fmac_f32_e32 v65, 0xbeae86e6, v12
	;; [unrolled: 1-line block ×3, first 2 shown]
	v_sub_f32_e32 v11, v11, v23
	v_add_f32_e32 v23, v15, v19
	v_sub_f32_e32 v15, v19, v15
	v_add_f32_e32 v19, v27, v30
	v_add_f32_e32 v18, v22, v18
	v_fmac_f32_e32 v63, 0x3eae86e6, v12
	v_add_f32_e32 v17, v17, v67
	v_add_f32_e32 v24, v24, v16
	v_fmac_f32_e32 v64, 0x3ee1c552, v5
	v_fmac_f32_e32 v25, 0x3ee1c552, v4
	;; [unrolled: 1-line block ×5, first 2 shown]
	v_add_f32_e32 v19, v23, v19
	v_add_f32_e32 v2, v2, v18
	v_fmac_f32_e32 v63, 0x3ee1c552, v4
	v_add_f32_e32 v4, v62, v64
	v_add_f32_e32 v8, v66, v21
	v_sub_f32_e32 v9, v24, v65
	v_sub_f32_e32 v12, v17, v61
	v_add_f32_e32 v13, v25, v20
	v_add_f32_e32 v16, v61, v17
	v_sub_f32_e32 v17, v20, v25
	v_sub_f32_e32 v20, v21, v66
	v_add_f32_e32 v21, v65, v24
	v_sub_f32_e32 v24, v62, v64
	v_sub_f32_e32 v61, v26, v29
	;; [unrolled: 1-line block ×7, first 2 shown]
	v_add_f32_e32 v3, v3, v19
	v_mov_b32_e32 v67, v2
	ds_read2_b64 v[33:36], v212 offset0:8 offset1:204
	v_sub_f32_e32 v5, v68, v63
	v_add_f32_e32 v25, v63, v68
	v_add_f32_e32 v63, v14, v10
	;; [unrolled: 1-line block ×3, first 2 shown]
	v_sub_f32_e32 v65, v14, v10
	v_sub_f32_e32 v66, v15, v11
	v_mul_f32_e32 v22, 0x3f4a47b2, v29
	v_mul_f32_e32 v23, 0x3f4a47b2, v30
	;; [unrolled: 1-line block ×4, first 2 shown]
	v_fmac_f32_e32 v67, 0xbf955555, v18
	v_mov_b32_e32 v18, v3
	v_sub_f32_e32 v14, v6, v14
	v_sub_f32_e32 v15, v7, v15
	;; [unrolled: 1-line block ×4, first 2 shown]
	v_add_f32_e32 v6, v63, v6
	v_add_f32_e32 v7, v64, v7
	v_mul_f32_e32 v63, 0xbf08b237, v65
	v_mul_f32_e32 v64, 0xbf08b237, v66
	v_fmac_f32_e32 v18, 0xbf955555, v19
	v_fma_f32 v19, v61, s4, -v29
	v_fma_f32 v29, v62, s4, -v30
	v_fma_f32 v30, v61, s3, -v22
	v_fmac_f32_e32 v22, 0x3d64c772, v26
	v_mul_f32_e32 v65, 0xbf5ff5aa, v10
	v_mul_f32_e32 v66, 0xbf5ff5aa, v11
	v_fma_f32 v26, v62, s3, -v23
	v_fmac_f32_e32 v23, 0x3d64c772, v27
	v_fma_f32 v27, v10, s5, -v63
	v_fmac_f32_e32 v63, 0x3eae86e6, v14
	v_fma_f32 v61, v11, s5, -v64
	v_add_f32_e32 v62, v22, v67
	v_add_f32_e32 v22, v29, v18
	s_waitcnt lgkmcnt(1)
	v_add_f32_e32 v29, v37, v57
	v_sub_f32_e32 v37, v37, v57
	v_add_f32_e32 v57, v41, v53
	v_fmac_f32_e32 v64, 0x3eae86e6, v15
	v_fmac_f32_e32 v65, 0xbeae86e6, v14
	;; [unrolled: 1-line block ×3, first 2 shown]
	v_add_f32_e32 v68, v23, v18
	v_add_f32_e32 v19, v19, v67
	v_add_f32_e32 v23, v30, v67
	v_fmac_f32_e32 v63, 0x3ee1c552, v6
	v_fmac_f32_e32 v27, 0x3ee1c552, v6
	;; [unrolled: 1-line block ×3, first 2 shown]
	v_add_f32_e32 v30, v38, v58
	v_sub_f32_e32 v38, v38, v58
	v_add_f32_e32 v58, v42, v54
	v_sub_f32_e32 v41, v41, v53
	;; [unrolled: 2-line block ×3, first 2 shown]
	v_add_f32_e32 v49, v57, v29
	v_add_f32_e32 v26, v26, v18
	v_fmac_f32_e32 v64, 0x3ee1c552, v7
	v_fmac_f32_e32 v65, 0x3ee1c552, v6
	;; [unrolled: 1-line block ×3, first 2 shown]
	v_sub_f32_e32 v7, v68, v63
	v_sub_f32_e32 v14, v19, v61
	v_add_f32_e32 v15, v27, v22
	v_add_f32_e32 v18, v61, v19
	v_sub_f32_e32 v19, v22, v27
	v_add_f32_e32 v27, v63, v68
	v_sub_f32_e32 v42, v42, v54
	;; [unrolled: 2-line block ×4, first 2 shown]
	v_sub_f32_e32 v63, v29, v53
	v_add_f32_e32 v29, v45, v41
	v_add_f32_e32 v49, v53, v49
	;; [unrolled: 1-line block ×4, first 2 shown]
	v_sub_f32_e32 v11, v26, v65
	v_sub_f32_e32 v22, v23, v66
	v_add_f32_e32 v23, v65, v26
	v_sub_f32_e32 v26, v62, v64
	v_sub_f32_e32 v62, v58, v30
	;; [unrolled: 1-line block ×3, first 2 shown]
	v_add_f32_e32 v30, v46, v42
	v_sub_f32_e32 v65, v45, v41
	v_sub_f32_e32 v45, v37, v45
	;; [unrolled: 1-line block ×3, first 2 shown]
	v_add_f32_e32 v50, v54, v50
	v_add_f32_e32 v37, v29, v37
	s_waitcnt lgkmcnt(0)
	v_add_f32_e32 v29, v33, v49
	v_sub_f32_e32 v57, v53, v57
	v_sub_f32_e32 v58, v54, v58
	;; [unrolled: 1-line block ×5, first 2 shown]
	v_add_f32_e32 v38, v30, v38
	v_add_f32_e32 v30, v34, v50
	v_mov_b32_e32 v67, v29
	v_mul_f32_e32 v33, 0x3f4a47b2, v63
	v_mul_f32_e32 v34, 0x3f4a47b2, v64
	;; [unrolled: 1-line block ×5, first 2 shown]
	v_fmac_f32_e32 v67, 0xbf955555, v49
	v_mov_b32_e32 v49, v30
	v_mul_f32_e32 v64, 0xbf08b237, v66
	v_mul_f32_e32 v66, 0xbf5ff5aa, v42
	v_fmac_f32_e32 v49, 0xbf955555, v50
	v_fma_f32 v50, v61, s4, -v53
	v_fma_f32 v53, v62, s4, -v54
	;; [unrolled: 1-line block ×3, first 2 shown]
	v_fmac_f32_e32 v33, 0x3d64c772, v57
	v_fma_f32 v57, v62, s3, -v34
	v_fmac_f32_e32 v34, 0x3d64c772, v58
	v_fma_f32 v58, v41, s5, -v63
	v_fma_f32 v61, v42, s5, -v64
	v_fmac_f32_e32 v64, 0x3eae86e6, v46
	v_fmac_f32_e32 v66, 0xbeae86e6, v46
	v_add_f32_e32 v46, v53, v49
	v_add_f32_e32 v53, v57, v49
	v_fmac_f32_e32 v58, 0x3ee1c552, v37
	v_add_f32_e32 v57, v39, v59
	v_sub_f32_e32 v39, v39, v59
	v_add_f32_e32 v59, v43, v55
	v_mul_f32_e32 v65, 0xbf5ff5aa, v41
	v_add_f32_e32 v42, v58, v46
	v_sub_f32_e32 v46, v46, v58
	v_add_f32_e32 v58, v40, v60
	v_sub_f32_e32 v40, v40, v60
	;; [unrolled: 2-line block ×4, first 2 shown]
	v_add_f32_e32 v51, v59, v57
	v_fmac_f32_e32 v65, 0xbeae86e6, v45
	v_sub_f32_e32 v44, v44, v56
	v_add_f32_e32 v56, v48, v52
	v_sub_f32_e32 v48, v52, v48
	v_add_f32_e32 v52, v60, v58
	v_add_f32_e32 v51, v55, v51
	v_fmac_f32_e32 v63, 0x3eae86e6, v45
	v_add_f32_e32 v62, v33, v67
	v_add_f32_e32 v45, v50, v67
	;; [unrolled: 1-line block ×3, first 2 shown]
	v_fmac_f32_e32 v64, 0x3ee1c552, v38
	v_fmac_f32_e32 v61, 0x3ee1c552, v38
	;; [unrolled: 1-line block ×4, first 2 shown]
	v_add_f32_e32 v52, v56, v52
	v_add_f32_e32 v35, v35, v51
	;; [unrolled: 1-line block ×3, first 2 shown]
	v_fmac_f32_e32 v63, 0x3ee1c552, v37
	v_add_f32_e32 v33, v62, v64
	v_add_f32_e32 v37, v66, v50
	v_sub_f32_e32 v38, v53, v65
	v_sub_f32_e32 v41, v45, v61
	v_add_f32_e32 v45, v61, v45
	v_sub_f32_e32 v49, v50, v66
	v_add_f32_e32 v50, v65, v53
	v_sub_f32_e32 v53, v62, v64
	v_sub_f32_e32 v61, v59, v57
	;; [unrolled: 1-line block ×7, first 2 shown]
	v_add_f32_e32 v36, v36, v52
	v_mov_b32_e32 v67, v35
	v_mul_f32_e32 v55, 0x3f4a47b2, v57
	v_mul_f32_e32 v56, 0x3f4a47b2, v58
	;; [unrolled: 1-line block ×4, first 2 shown]
	v_fmac_f32_e32 v67, 0xbf955555, v51
	v_mov_b32_e32 v51, v36
	v_fmac_f32_e32 v51, 0xbf955555, v52
	v_fma_f32 v52, v61, s4, -v57
	v_fma_f32 v57, v62, s4, -v58
	;; [unrolled: 1-line block ×3, first 2 shown]
	v_fmac_f32_e32 v55, 0x3d64c772, v59
	v_fma_f32 v59, v62, s3, -v56
	v_add_f32_e32 v62, v55, v67
	v_add_f32_e32 v55, v57, v51
	;; [unrolled: 1-line block ×3, first 2 shown]
	v_mul_lo_u16_e32 v59, 7, v210
	v_lshlrev_b32_e32 v59, 3, v59
	s_barrier
	buffer_store_dword v59, off, s[24:27], 0 offset:256 ; 4-byte Folded Spill
	ds_write2_b64 v59, v[0:1], v[4:5] offset1:1
	ds_write2_b64 v59, v[8:9], v[12:13] offset0:2 offset1:3
	ds_write2_b64 v59, v[16:17], v[20:21] offset0:4 offset1:5
	ds_write_b64 v59, v[24:25] offset:48
	v_mul_u32_u24_e32 v0, 7, v32
	v_lshlrev_b32_e32 v0, 3, v0
	buffer_store_dword v0, off, s[24:27], 0 offset:252 ; 4-byte Folded Spill
	ds_write2_b64 v0, v[2:3], v[6:7] offset1:1
	ds_write2_b64 v0, v[10:11], v[14:15] offset0:2 offset1:3
	ds_write2_b64 v0, v[18:19], v[22:23] offset0:4 offset1:5
	ds_write_b64 v0, v[26:27] offset:48
	v_mul_u32_u24_e32 v0, 7, v116
	v_sub_f32_e32 v34, v68, v63
	v_lshlrev_b32_e32 v0, 3, v0
	v_add_f32_e32 v54, v63, v68
	buffer_store_dword v0, off, s[24:27], 0 offset:248 ; 4-byte Folded Spill
	ds_write2_b64 v0, v[29:30], v[33:34] offset1:1
	ds_write2_b64 v0, v[37:38], v[41:42] offset0:2 offset1:3
	ds_write2_b64 v0, v[45:46], v[49:50] offset0:4 offset1:5
	ds_write_b64 v0, v[53:54] offset:48
	v_mov_b32_e32 v29, 37
	v_mul_lo_u16_sdwa v29, v210, v29 dst_sel:DWORD dst_unused:UNUSED_PAD src0_sel:BYTE_0 src1_sel:DWORD
	v_sub_u16_sdwa v30, v210, v29 dst_sel:DWORD dst_unused:UNUSED_PAD src0_sel:DWORD src1_sel:BYTE_1
	v_lshrrev_b16_e32 v30, 1, v30
	v_and_b32_e32 v30, 0x7f, v30
	v_add_u16_sdwa v29, v30, v29 dst_sel:DWORD dst_unused:UNUSED_PAD src0_sel:DWORD src1_sel:BYTE_1
	v_lshrrev_b16_e32 v33, 2, v29
	v_mul_lo_u16_e32 v29, 7, v33
	v_sub_u16_e32 v29, v210, v29
	v_add_f32_e32 v63, v47, v43
	v_add_f32_e32 v64, v48, v44
	v_sub_f32_e32 v65, v47, v43
	v_sub_f32_e32 v66, v48, v44
	;; [unrolled: 1-line block ×4, first 2 shown]
	v_and_b32_e32 v34, 0xff, v29
	v_sub_f32_e32 v47, v39, v47
	v_sub_f32_e32 v48, v40, v48
	v_add_f32_e32 v39, v63, v39
	v_add_f32_e32 v40, v64, v40
	v_mul_f32_e32 v63, 0xbf08b237, v65
	v_mul_f32_e32 v64, 0xbf08b237, v66
	;; [unrolled: 1-line block ×4, first 2 shown]
	v_mad_u64_u32 v[29:30], s[8:9], v34, 24, s[10:11]
	v_fmac_f32_e32 v56, 0x3d64c772, v60
	v_fma_f32 v60, v43, s5, -v63
	v_fmac_f32_e32 v63, 0x3eae86e6, v47
	v_fma_f32 v61, v44, s5, -v64
	v_fmac_f32_e32 v64, 0x3eae86e6, v48
	v_fmac_f32_e32 v65, 0xbeae86e6, v47
	;; [unrolled: 1-line block ×3, first 2 shown]
	v_add_f32_e32 v68, v56, v51
	v_add_f32_e32 v52, v52, v67
	;; [unrolled: 1-line block ×3, first 2 shown]
	v_fmac_f32_e32 v63, 0x3ee1c552, v39
	v_fmac_f32_e32 v64, 0x3ee1c552, v40
	;; [unrolled: 1-line block ×6, first 2 shown]
	v_mul_u32_u24_e32 v0, 7, v117
	v_add_f32_e32 v39, v62, v64
	v_sub_f32_e32 v40, v68, v63
	v_add_f32_e32 v43, v66, v56
	v_sub_f32_e32 v44, v57, v65
	v_sub_f32_e32 v47, v52, v61
	v_add_f32_e32 v48, v60, v55
	v_add_f32_e32 v51, v61, v52
	v_sub_f32_e32 v52, v55, v60
	v_lshlrev_b32_e32 v0, 3, v0
	v_sub_f32_e32 v55, v56, v66
	v_add_f32_e32 v56, v65, v57
	v_sub_f32_e32 v57, v62, v64
	v_add_f32_e32 v58, v63, v68
	buffer_store_dword v0, off, s[24:27], 0 offset:244 ; 4-byte Folded Spill
	ds_write2_b64 v0, v[35:36], v[39:40] offset1:1
	ds_write2_b64 v0, v[43:44], v[47:48] offset0:2 offset1:3
	ds_write2_b64 v0, v[51:52], v[55:56] offset0:4 offset1:5
	ds_write_b64 v0, v[57:58] offset:48
	s_waitcnt vmcnt(0) lgkmcnt(0)
	s_barrier
	ds_read2_b64 v[12:15], v211 offset1:196
	ds_read2_b64 v[0:3], v158 offset0:24 offset1:220
	ds_read2_b64 v[35:38], v73 offset0:56 offset1:252
	v_mov_b32_e32 v126, v73
	ds_read2_b64 v[16:19], v71 offset0:16 offset1:212
	ds_read2_b64 v[39:42], v70 offset0:32 offset1:228
	;; [unrolled: 1-line block ×3, first 2 shown]
	v_mov_b32_e32 v124, v72
	ds_read2_b64 v[8:11], v212 offset0:8 offset1:204
	ds_read2_b64 v[64:67], v69 offset1:196
	ds_read2_b64 v[68:71], v74 offset0:40 offset1:236
	v_mov_b32_e32 v128, v74
	ds_read2_b64 v[72:75], v76 offset0:32 offset1:228
	ds_read2_b64 v[4:7], v157 offset0:16 offset1:212
	;; [unrolled: 1-line block ×5, first 2 shown]
	global_load_dwordx2 v[52:53], v[29:30], off offset:16
	global_load_dwordx4 v[48:51], v[29:30], off
	s_waitcnt vmcnt(1)
	buffer_store_dword v52, off, s[24:27], 0 offset:332 ; 4-byte Folded Spill
	s_nop 0
	buffer_store_dword v53, off, s[24:27], 0 offset:336 ; 4-byte Folded Spill
	s_waitcnt vmcnt(2) lgkmcnt(12)
	v_mul_f32_e32 v29, v3, v49
	v_mov_b32_e32 v125, v80
	v_fma_f32 v47, v2, v48, -v29
	v_mul_f32_e32 v80, v2, v49
	s_waitcnt lgkmcnt(11)
	v_mul_f32_e32 v2, v36, v51
	v_mov_b32_e32 v127, v81
	v_fma_f32 v81, v35, v50, -v2
	v_mul_f32_e32 v35, v35, v51
	s_movk_i32 s8, 0x2493
	v_fmac_f32_e32 v35, v36, v50
	v_fmac_f32_e32 v80, v3, v48
	v_mul_u32_u24_e32 v33, 28, v33
	v_add_lshl_u32 v31, v33, v34, 3
	v_mov_b32_e32 v149, v126
	v_mov_b32_e32 v148, v127
	v_mov_b32_e32 v150, v128
	s_waitcnt lgkmcnt(10)
	v_mul_f32_e32 v2, v19, v53
	v_fma_f32 v36, v18, v52, -v2
	v_mul_u32_u24_sdwa v2, v32, s8 dst_sel:DWORD dst_unused:UNUSED_PAD src0_sel:WORD_0 src1_sel:DWORD
	v_sub_u16_sdwa v3, v32, v2 dst_sel:DWORD dst_unused:UNUSED_PAD src0_sel:DWORD src1_sel:WORD_1
	v_lshrrev_b16_e32 v3, 1, v3
	v_add_u16_sdwa v2, v3, v2 dst_sel:DWORD dst_unused:UNUSED_PAD src0_sel:DWORD src1_sel:WORD_1
	v_lshrrev_b16_e32 v2, 2, v2
	v_mul_lo_u16_e32 v3, 7, v2
	v_sub_u16_e32 v3, v32, v3
	v_mul_f32_e32 v82, v18, v53
	v_mul_lo_u16_e32 v18, 24, v3
	v_add_co_u32_e32 v18, vcc, s10, v18
	v_fmac_f32_e32 v82, v19, v52
	v_addc_co_u32_e32 v19, vcc, 0, v118, vcc
	global_load_dwordx2 v[232:233], v[18:19], off offset:16
	global_load_dwordx4 v[60:63], v[18:19], off
	v_mad_legacy_u16 v2, v2, 28, v3
	v_lshlrev_b32_e32 v2, 3, v2
	s_waitcnt vmcnt(0) lgkmcnt(9)
	v_mul_f32_e32 v18, v40, v61
	v_fma_f32 v83, v39, v60, -v18
	v_mul_f32_e32 v39, v39, v61
	v_mul_f32_e32 v18, v38, v63
	v_fmac_f32_e32 v39, v40, v60
	v_fma_f32 v40, v37, v62, -v18
	v_mul_f32_e32 v37, v37, v63
	s_waitcnt lgkmcnt(8)
	v_mul_f32_e32 v18, v44, v233
	v_fmac_f32_e32 v37, v38, v62
	v_fma_f32 v38, v43, v232, -v18
	v_mul_u32_u24_sdwa v18, v116, s8 dst_sel:DWORD dst_unused:UNUSED_PAD src0_sel:WORD_0 src1_sel:DWORD
	v_sub_u16_sdwa v19, v116, v18 dst_sel:DWORD dst_unused:UNUSED_PAD src0_sel:DWORD src1_sel:WORD_1
	v_lshrrev_b16_e32 v19, 1, v19
	v_add_u16_sdwa v18, v19, v18 dst_sel:DWORD dst_unused:UNUSED_PAD src0_sel:DWORD src1_sel:WORD_1
	v_lshrrev_b16_e32 v18, 2, v18
	v_mul_lo_u16_e32 v19, 7, v18
	v_sub_u16_e32 v19, v116, v19
	v_mul_lo_u16_e32 v29, 24, v19
	v_add_co_u32_e32 v29, vcc, s10, v29
	v_addc_co_u32_e32 v30, vcc, 0, v118, vcc
	global_load_dwordx2 v[230:231], v[29:30], off offset:16
	global_load_dwordx4 v[52:55], v[29:30], off
	v_mul_f32_e32 v43, v43, v233
	v_fmac_f32_e32 v43, v44, v232
	s_waitcnt vmcnt(0)
	v_mul_f32_e32 v29, v42, v53
	v_fma_f32 v44, v41, v52, -v29
	v_mul_f32_e32 v41, v41, v53
	s_waitcnt lgkmcnt(6)
	v_mul_f32_e32 v29, v65, v55
	v_fmac_f32_e32 v41, v42, v52
	v_fma_f32 v42, v64, v54, -v29
	v_mul_f32_e32 v29, v46, v231
	v_fma_f32 v85, v45, v230, -v29
	v_mul_u32_u24_sdwa v29, v117, s8 dst_sel:DWORD dst_unused:UNUSED_PAD src0_sel:WORD_0 src1_sel:DWORD
	v_sub_u16_sdwa v30, v117, v29 dst_sel:DWORD dst_unused:UNUSED_PAD src0_sel:DWORD src1_sel:WORD_1
	v_lshrrev_b16_e32 v30, 1, v30
	v_add_u16_sdwa v29, v30, v29 dst_sel:DWORD dst_unused:UNUSED_PAD src0_sel:DWORD src1_sel:WORD_1
	v_lshrrev_b16_e32 v94, 2, v29
	v_mul_lo_u16_e32 v29, 7, v94
	v_sub_u16_e32 v95, v117, v29
	v_mul_lo_u16_e32 v29, 24, v95
	v_add_co_u32_e32 v29, vcc, s10, v29
	v_addc_co_u32_e32 v30, vcc, 0, v118, vcc
	global_load_dwordx2 v[240:241], v[29:30], off offset:16
	global_load_dwordx4 v[56:59], v[29:30], off
	v_mul_f32_e32 v45, v45, v231
	v_fmac_f32_e32 v45, v46, v230
	v_mul_f32_e32 v84, v64, v55
	v_fmac_f32_e32 v84, v65, v54
	s_waitcnt vmcnt(1) lgkmcnt(4)
	v_mul_f32_e32 v90, v72, v241
	s_waitcnt vmcnt(0)
	v_mul_f32_e32 v29, v69, v57
	v_fma_f32 v46, v68, v56, -v29
	v_mul_f32_e32 v29, v67, v59
	v_fma_f32 v87, v66, v58, -v29
	;; [unrolled: 2-line block ×3, first 2 shown]
	v_mul_u32_u24_e32 v29, 0x2493, v121
	v_sub_u16_sdwa v30, v121, v29 dst_sel:DWORD dst_unused:UNUSED_PAD src0_sel:DWORD src1_sel:WORD_1
	v_lshrrev_b16_e32 v30, 1, v30
	v_add_u16_sdwa v29, v30, v29 dst_sel:DWORD dst_unused:UNUSED_PAD src0_sel:DWORD src1_sel:WORD_1
	v_lshrrev_b16_e32 v96, 2, v29
	v_mul_lo_u16_e32 v29, 7, v96
	v_sub_u16_e32 v97, v121, v29
	v_mul_lo_u16_e32 v29, 24, v97
	v_add_co_u32_e32 v29, vcc, s10, v29
	v_mul_f32_e32 v88, v66, v59
	v_addc_co_u32_e32 v30, vcc, 0, v118, vcc
	v_fmac_f32_e32 v88, v67, v58
	global_load_dwordx2 v[242:243], v[29:30], off offset:16
	global_load_dwordx4 v[64:67], v[29:30], off
	v_mul_f32_e32 v86, v68, v57
	v_fmac_f32_e32 v86, v69, v56
	v_fmac_f32_e32 v90, v73, v240
	s_waitcnt vmcnt(1)
	v_mul_f32_e32 v98, v74, v243
	s_waitcnt vmcnt(0)
	v_mul_f32_e32 v29, v71, v65
	v_fma_f32 v91, v70, v64, -v29
	s_waitcnt lgkmcnt(2)
	v_mul_f32_e32 v29, v77, v67
	v_fma_f32 v93, v76, v66, -v29
	v_mul_f32_e32 v76, v76, v67
	v_mul_f32_e32 v29, v75, v243
	v_fmac_f32_e32 v76, v77, v66
	v_fma_f32 v77, v74, v242, -v29
	v_mul_u32_u24_e32 v29, 0x2493, v119
	v_sub_u16_sdwa v30, v119, v29 dst_sel:DWORD dst_unused:UNUSED_PAD src0_sel:DWORD src1_sel:WORD_1
	v_lshrrev_b16_e32 v30, 1, v30
	v_add_u16_sdwa v29, v30, v29 dst_sel:DWORD dst_unused:UNUSED_PAD src0_sel:DWORD src1_sel:WORD_1
	v_lshrrev_b16_e32 v99, 2, v29
	v_mul_lo_u16_e32 v29, 7, v99
	v_sub_u16_e32 v100, v119, v29
	v_mul_lo_u16_e32 v29, 24, v100
	v_add_co_u32_e32 v29, vcc, s10, v29
	v_mul_f32_e32 v92, v70, v65
	v_addc_co_u32_e32 v30, vcc, 0, v118, vcc
	v_fmac_f32_e32 v92, v71, v64
	global_load_dwordx2 v[244:245], v[29:30], off offset:16
	global_load_dwordx4 v[68:71], v[29:30], off
	v_fmac_f32_e32 v98, v75, v242
	v_sub_f32_e32 v30, v15, v37
	v_sub_f32_e32 v37, v41, v45
	;; [unrolled: 1-line block ×3, first 2 shown]
	s_waitcnt vmcnt(1) lgkmcnt(0)
	v_mul_f32_e32 v106, v20, v245
	s_waitcnt vmcnt(0)
	v_mul_f32_e32 v29, v25, v69
	v_fma_f32 v101, v24, v68, -v29
	v_mul_f32_e32 v102, v24, v69
	v_mul_f32_e32 v24, v79, v71
	v_fma_f32 v103, v78, v70, -v24
	v_mul_f32_e32 v24, v21, v245
	v_fma_f32 v105, v20, v244, -v24
	v_mul_u32_u24_e32 v20, 0x2493, v120
	v_fmac_f32_e32 v106, v21, v244
	v_sub_u16_sdwa v21, v120, v20 dst_sel:DWORD dst_unused:UNUSED_PAD src0_sel:DWORD src1_sel:WORD_1
	v_lshrrev_b16_e32 v21, 1, v21
	v_add_u16_sdwa v20, v21, v20 dst_sel:DWORD dst_unused:UNUSED_PAD src0_sel:DWORD src1_sel:WORD_1
	v_lshrrev_b16_e32 v107, 2, v20
	v_mul_lo_u16_e32 v20, 7, v107
	v_sub_u16_e32 v108, v120, v20
	v_mul_lo_u16_e32 v20, 24, v108
	v_add_co_u32_e32 v20, vcc, s10, v20
	v_addc_co_u32_e32 v21, vcc, 0, v118, vcc
	global_load_dwordx2 v[246:247], v[20:21], off offset:16
	global_load_dwordx4 v[72:75], v[20:21], off
	v_sub_f32_e32 v21, v47, v36
	v_sub_f32_e32 v29, v14, v40
	v_fmac_f32_e32 v102, v25, v68
	v_fma_f32 v24, v14, 2.0, -v29
	v_fma_f32 v25, v15, 2.0, -v30
	v_sub_f32_e32 v40, v9, v84
	v_fma_f32 v36, v9, 2.0, -v40
	v_fma_f32 v9, v41, 2.0, -v37
	v_sub_f32_e32 v9, v36, v9
	s_waitcnt vmcnt(0)
	s_barrier
	buffer_store_dword v31, off, s[24:27], 0 offset:240 ; 4-byte Folded Spill
	v_mul_f32_e32 v104, v78, v71
	v_fma_f32 v36, v36, 2.0, -v9
	v_fma_f32 v41, v10, 2.0, -v45
	v_fmac_f32_e32 v104, v79, v70
	v_sub_f32_e32 v79, v91, v77
	v_sub_f32_e32 v87, v7, v104
	;; [unrolled: 1-line block ×3, first 2 shown]
	v_mul_f32_e32 v114, v22, v247
	v_mul_f32_e32 v20, v27, v73
	v_fma_f32 v109, v26, v72, -v20
	v_mul_f32_e32 v20, v17, v75
	v_mul_f32_e32 v110, v26, v73
	v_fma_f32 v111, v16, v74, -v20
	v_mul_f32_e32 v112, v16, v75
	v_mul_f32_e32 v16, v23, v247
	v_fmac_f32_e32 v110, v27, v72
	v_fma_f32 v113, v22, v246, -v16
	v_fmac_f32_e32 v114, v23, v246
	v_sub_f32_e32 v22, v12, v81
	v_sub_f32_e32 v23, v13, v35
	;; [unrolled: 1-line block ×5, first 2 shown]
	v_fmac_f32_e32 v112, v17, v74
	v_fma_f32 v16, v12, 2.0, -v22
	v_fma_f32 v17, v13, 2.0, -v23
	;; [unrolled: 1-line block ×6, first 2 shown]
	v_sub_f32_e32 v12, v16, v12
	v_sub_f32_e32 v13, v17, v13
	;; [unrolled: 1-line block ×3, first 2 shown]
	v_add_f32_e32 v21, v23, v21
	v_sub_f32_e32 v14, v24, v14
	v_sub_f32_e32 v15, v25, v15
	v_sub_f32_e32 v26, v29, v26
	v_add_f32_e32 v27, v30, v27
	v_sub_f32_e32 v39, v8, v42
	v_sub_f32_e32 v38, v44, v85
	v_fma_f32 v16, v16, 2.0, -v12
	v_fma_f32 v17, v17, 2.0, -v13
	;; [unrolled: 1-line block ×10, first 2 shown]
	v_sub_f32_e32 v8, v35, v8
	v_sub_f32_e32 v37, v39, v37
	v_add_f32_e32 v38, v40, v38
	v_sub_f32_e32 v47, v11, v88
	v_sub_f32_e32 v44, v46, v89
	;; [unrolled: 1-line block ×5, first 2 shown]
	ds_write2_b64 v31, v[16:17], v[22:23] offset1:7
	ds_write2_b64 v31, v[12:13], v[20:21] offset0:14 offset1:21
	buffer_store_dword v2, off, s[24:27], 0 offset:236 ; 4-byte Folded Spill
	ds_write2_b64 v2, v[24:25], v[29:30] offset1:7
	ds_write2_b64 v2, v[14:15], v[26:27] offset0:14 offset1:21
	v_mad_legacy_u16 v2, v18, 28, v19
	v_fma_f32 v35, v35, 2.0, -v8
	v_fma_f32 v39, v39, 2.0, -v37
	;; [unrolled: 1-line block ×6, first 2 shown]
	v_add_f32_e32 v44, v47, v44
	v_fma_f32 v78, v5, 2.0, -v81
	v_fma_f32 v5, v92, 2.0, -v80
	v_lshlrev_b32_e32 v2, 3, v2
	v_sub_f32_e32 v10, v41, v10
	v_sub_f32_e32 v11, v42, v11
	;; [unrolled: 1-line block ×3, first 2 shown]
	v_fma_f32 v46, v47, 2.0, -v44
	v_sub_f32_e32 v47, v4, v93
	v_sub_f32_e32 v5, v78, v5
	buffer_store_dword v2, off, s[24:27], 0 offset:232 ; 4-byte Folded Spill
	ds_write2_b64 v2, v[35:36], v[39:40] offset1:7
	ds_write2_b64 v2, v[8:9], v[37:38] offset0:14 offset1:21
	v_mad_legacy_u16 v2, v94, 28, v95
	v_fma_f32 v41, v41, 2.0, -v10
	v_fma_f32 v42, v42, 2.0, -v11
	;; [unrolled: 1-line block ×6, first 2 shown]
	v_sub_f32_e32 v78, v47, v80
	v_lshlrev_b32_e32 v2, 3, v2
	v_sub_f32_e32 v4, v76, v4
	v_add_f32_e32 v79, v81, v79
	v_fma_f32 v80, v47, 2.0, -v78
	v_sub_f32_e32 v47, v6, v103
	v_sub_f32_e32 v85, v101, v105
	buffer_store_dword v2, off, s[24:27], 0 offset:228 ; 4-byte Folded Spill
	ds_write2_b64 v2, v[41:42], v[45:46] offset1:7
	ds_write2_b64 v2, v[10:11], v[43:44] offset0:14 offset1:21
	v_mad_legacy_u16 v2, v96, 28, v97
	v_fma_f32 v76, v76, 2.0, -v4
	v_fma_f32 v81, v81, 2.0, -v79
	;; [unrolled: 1-line block ×6, first 2 shown]
	v_sub_f32_e32 v84, v47, v84
	v_lshlrev_b32_e32 v2, 3, v2
	v_sub_f32_e32 v6, v82, v6
	v_sub_f32_e32 v7, v83, v7
	v_add_f32_e32 v85, v87, v85
	v_fma_f32 v86, v47, 2.0, -v84
	v_sub_f32_e32 v47, v0, v111
	v_sub_f32_e32 v93, v1, v112
	;; [unrolled: 1-line block ×4, first 2 shown]
	buffer_store_dword v2, off, s[24:27], 0 offset:224 ; 4-byte Folded Spill
	ds_write2_b64 v2, v[76:77], v[80:81] offset1:7
	ds_write2_b64 v2, v[4:5], v[78:79] offset0:14 offset1:21
	v_mad_legacy_u16 v2, v99, 28, v100
	v_fma_f32 v82, v82, 2.0, -v6
	v_fma_f32 v83, v83, 2.0, -v7
	;; [unrolled: 1-line block ×7, first 2 shown]
	v_lshlrev_b32_e32 v2, 3, v2
	v_sub_f32_e32 v0, v88, v0
	v_sub_f32_e32 v1, v89, v1
	;; [unrolled: 1-line block ×3, first 2 shown]
	v_add_f32_e32 v91, v93, v91
	buffer_store_dword v2, off, s[24:27], 0 offset:216 ; 4-byte Folded Spill
	ds_write2_b64 v2, v[82:83], v[86:87] offset1:7
	ds_write2_b64 v2, v[6:7], v[84:85] offset0:14 offset1:21
	v_mad_legacy_u16 v2, v107, 28, v108
	v_mov_b32_e32 v16, 2
	v_fma_f32 v88, v88, 2.0, -v0
	v_fma_f32 v89, v89, 2.0, -v1
	;; [unrolled: 1-line block ×4, first 2 shown]
	v_lshlrev_b32_e32 v2, 3, v2
	v_lshrrev_b16_sdwa v16, v16, v210 dst_sel:DWORD dst_unused:UNUSED_PAD src0_sel:DWORD src1_sel:BYTE_0
	buffer_store_dword v2, off, s[24:27], 0 offset:220 ; 4-byte Folded Spill
	ds_write2_b64 v2, v[88:89], v[92:93] offset1:7
	ds_write2_b64 v2, v[0:1], v[90:91] offset0:14 offset1:21
	s_waitcnt vmcnt(0) lgkmcnt(0)
	s_barrier
	ds_read2_b64 v[80:83], v211 offset1:196
	ds_read2_b64 v[0:3], v157 offset0:16 offset1:212
	ds_read2_b64 v[4:7], v115 offset0:32 offset1:228
	;; [unrolled: 1-line block ×3, first 2 shown]
	v_mul_lo_u16_e32 v130, 37, v16
	v_mov_b32_e32 v16, 28
	v_mul_lo_u16_sdwa v16, v130, v16 dst_sel:DWORD dst_unused:UNUSED_PAD src0_sel:BYTE_1 src1_sel:DWORD
	v_sub_u16_e32 v16, v210, v16
	v_and_b32_e32 v131, 0xff, v16
	v_mad_u64_u32 v[16:17], s[8:9], v131, 48, s[10:11]
	ds_read2_b64 v[12:15], v123 offset1:196
	ds_read2_b64 v[20:23], v122 offset0:16 offset1:212
	ds_read2_b64 v[33:36], v129 offset0:32 offset1:228
	;; [unrolled: 1-line block ×9, first 2 shown]
	global_load_dwordx4 v[250:253], v[16:17], off offset:200
	global_load_dwordx4 v[219:222], v[16:17], off offset:184
	;; [unrolled: 1-line block ×3, first 2 shown]
	v_mov_b32_e32 v31, v124
	v_mov_b32_e32 v27, v125
	;; [unrolled: 1-line block ×3, first 2 shown]
	v_lshrrev_b16_e32 v122, 2, v116
	v_mov_b32_e32 v24, v123
	v_lshrrev_b16_e32 v123, 2, v117
	v_mov_b32_e32 v25, v115
	s_waitcnt vmcnt(2) lgkmcnt(7)
	v_mul_f32_e32 v147, v33, v253
	s_waitcnt vmcnt(1)
	v_mul_f32_e32 v30, v12, v222
	s_waitcnt vmcnt(0)
	v_mul_f32_e32 v16, v1, v197
	v_fma_f32 v16, v0, v196, -v16
	v_mul_f32_e32 v17, v0, v197
	v_mul_f32_e32 v0, v5, v199
	v_fma_f32 v18, v4, v198, -v0
	v_mul_f32_e32 v4, v4, v199
	v_mul_f32_e32 v0, v9, v220
	v_fmac_f32_e32 v4, v5, v198
	v_fma_f32 v5, v8, v219, -v0
	v_mul_f32_e32 v0, v13, v222
	v_fma_f32 v29, v12, v221, -v0
	v_mul_f32_e32 v0, v21, v251
	;; [unrolled: 2-line block ×3, first 2 shown]
	v_mul_f32_e32 v0, v34, v253
	v_fmac_f32_e32 v20, v21, v250
	v_fma_f32 v21, v33, v252, -v0
	v_lshrrev_b16_e32 v0, 2, v32
	v_mul_u32_u24_e32 v0, 0x4925, v0
	v_lshrrev_b32_e32 v124, 17, v0
	v_mul_lo_u16_e32 v0, 28, v124
	v_sub_u16_e32 v125, v32, v0
	v_mul_lo_u16_e32 v0, 48, v125
	v_add_co_u32_e32 v0, vcc, s10, v0
	v_fmac_f32_e32 v17, v1, v196
	v_addc_co_u32_e32 v1, vcc, 0, v118, vcc
	global_load_dwordx4 v[234:237], v[0:1], off offset:200
	global_load_dwordx4 v[206:209], v[0:1], off offset:184
	;; [unrolled: 1-line block ×3, first 2 shown]
	v_mul_f32_e32 v19, v8, v220
	v_fmac_f32_e32 v147, v34, v252
	v_fmac_f32_e32 v19, v9, v219
	;; [unrolled: 1-line block ×3, first 2 shown]
	v_mov_b32_e32 v32, v151
	v_mov_b32_e32 v33, v152
	;; [unrolled: 1-line block ×3, first 2 shown]
	s_waitcnt vmcnt(2)
	v_mul_f32_e32 v145, v35, v237
	v_fmac_f32_e32 v145, v36, v236
	s_waitcnt vmcnt(0)
	v_mul_f32_e32 v0, v3, v193
	v_fma_f32 v140, v2, v192, -v0
	v_mul_f32_e32 v0, v7, v195
	v_fma_f32 v138, v6, v194, -v0
	;; [unrolled: 2-line block ×6, first 2 shown]
	v_mul_u32_u24_e32 v0, 0x4925, v122
	v_lshrrev_b32_e32 v126, 17, v0
	v_mul_lo_u16_e32 v0, 28, v126
	v_sub_u16_e32 v127, v116, v0
	v_mul_lo_u16_e32 v0, 48, v127
	v_add_co_u32_e32 v0, vcc, s10, v0
	v_addc_co_u32_e32 v1, vcc, 0, v118, vcc
	global_load_dwordx4 v[213:216], v[0:1], off offset:200
	global_load_dwordx4 v[36:39], v[0:1], off offset:184
	;; [unrolled: 1-line block ×3, first 2 shown]
	v_mul_f32_e32 v141, v2, v193
	v_fmac_f32_e32 v141, v3, v192
	v_mul_f32_e32 v139, v6, v195
	v_mul_f32_e32 v113, v10, v207
	;; [unrolled: 1-line block ×3, first 2 shown]
	v_add_f32_e32 v22, v4, v20
	v_sub_f32_e32 v4, v4, v20
	v_add_f32_e32 v20, v5, v29
	v_sub_f32_e32 v5, v29, v5
	v_fmac_f32_e32 v143, v23, v234
	v_add_f32_e32 v23, v19, v30
	v_sub_f32_e32 v19, v30, v19
	v_fmac_f32_e32 v139, v7, v194
	v_mul_f32_e32 v137, v14, v209
	v_fmac_f32_e32 v113, v11, v206
	v_fmac_f32_e32 v137, v15, v208
	v_mov_b32_e32 v35, v27
	s_waitcnt vmcnt(2) lgkmcnt(0)
	v_mul_f32_e32 v111, v84, v216
	s_waitcnt vmcnt(1)
	v_mul_f32_e32 v2, v93, v39
	s_waitcnt vmcnt(0)
	v_mul_f32_e32 v0, v105, v41
	v_fma_f32 v108, v104, v40, -v0
	v_mul_f32_e32 v104, v104, v41
	v_fma_f32 v12, v92, v38, -v2
	v_mul_f32_e32 v2, v89, v214
	v_fmac_f32_e32 v104, v105, v40
	v_fma_f32 v105, v88, v213, -v2
	v_mul_f32_e32 v2, v85, v216
	v_fma_f32 v110, v84, v215, -v2
	v_mul_u32_u24_e32 v2, 0x4925, v123
	v_lshrrev_b32_e32 v128, 17, v2
	v_mul_lo_u16_e32 v2, 28, v128
	v_sub_u16_e32 v129, v117, v2
	v_mul_lo_u16_e32 v2, 48, v129
	v_add_co_u32_e32 v2, vcc, s10, v2
	v_addc_co_u32_e32 v3, vcc, 0, v118, vcc
	global_load_dwordx4 v[202:205], v[2:3], off offset:200
	global_load_dwordx4 v[188:191], v[2:3], off offset:184
	;; [unrolled: 1-line block ×3, first 2 shown]
	v_add_f32_e32 v3, v17, v147
	v_add_f32_e32 v30, v22, v3
	v_mul_f32_e32 v109, v88, v214
	v_fmac_f32_e32 v111, v85, v215
	v_sub_f32_e32 v17, v17, v147
	v_sub_f32_e32 v85, v22, v3
	;; [unrolled: 1-line block ×3, first 2 shown]
	v_mul_f32_e32 v13, v92, v39
	v_fmac_f32_e32 v109, v89, v213
	v_sub_f32_e32 v89, v19, v4
	v_fmac_f32_e32 v13, v93, v38
	v_mul_f32_e32 v93, 0xbf08b237, v89
	v_mul_f32_e32 v0, v101, v43
	v_fma_f32 v14, v100, v42, -v0
	v_mul_f32_e32 v0, v97, v37
	v_fma_f32 v0, v96, v36, -v0
	v_mul_f32_e32 v1, v96, v37
	v_mul_f32_e32 v15, v100, v43
	v_fmac_f32_e32 v1, v97, v36
	v_fmac_f32_e32 v15, v101, v42
	s_waitcnt vmcnt(0)
	s_barrier
	v_mul_f32_e32 v135, v86, v205
	v_fmac_f32_e32 v135, v87, v204
	v_mul_f32_e32 v2, v107, v45
	v_fma_f32 v6, v106, v44, -v2
	v_mul_f32_e32 v2, v103, v47
	v_fma_f32 v8, v102, v46, -v2
	;; [unrolled: 2-line block ×6, first 2 shown]
	v_add_f32_e32 v2, v16, v21
	v_sub_f32_e32 v16, v16, v21
	v_add_f32_e32 v21, v18, v146
	v_sub_f32_e32 v18, v18, v146
	;; [unrolled: 2-line block ×3, first 2 shown]
	v_sub_f32_e32 v86, v2, v20
	v_sub_f32_e32 v21, v20, v21
	v_add_f32_e32 v2, v5, v18
	v_add_f32_e32 v20, v20, v29
	v_sub_f32_e32 v87, v3, v23
	v_add_f32_e32 v3, v19, v4
	v_sub_f32_e32 v88, v5, v18
	v_sub_f32_e32 v5, v16, v5
	;; [unrolled: 1-line block ×3, first 2 shown]
	v_add_f32_e32 v23, v23, v30
	v_add_f32_e32 v16, v2, v16
	;; [unrolled: 1-line block ×3, first 2 shown]
	v_sub_f32_e32 v19, v17, v19
	v_sub_f32_e32 v4, v4, v17
	v_add_f32_e32 v17, v3, v17
	v_add_f32_e32 v3, v81, v23
	v_mul_f32_e32 v92, 0xbf08b237, v88
	v_mov_b32_e32 v88, v2
	v_mul_f32_e32 v29, 0x3f4a47b2, v86
	v_mul_f32_e32 v30, 0x3f4a47b2, v87
	;; [unrolled: 1-line block ×5, first 2 shown]
	v_fmac_f32_e32 v88, 0xbf955555, v20
	v_mov_b32_e32 v20, v3
	v_mul_f32_e32 v86, 0xbf5ff5aa, v4
	v_fmac_f32_e32 v20, 0xbf955555, v23
	v_fma_f32 v23, v84, s4, -v80
	v_fma_f32 v80, v85, s4, -v81
	;; [unrolled: 1-line block ×3, first 2 shown]
	v_fmac_f32_e32 v29, 0x3d64c772, v21
	v_fma_f32 v21, v85, s3, -v30
	v_fmac_f32_e32 v30, 0x3d64c772, v22
	v_fmac_f32_e32 v87, 0xbeae86e6, v5
	v_fma_f32 v18, v18, s5, -v92
	v_fmac_f32_e32 v92, 0x3eae86e6, v5
	v_fma_f32 v22, v4, s5, -v93
	v_fmac_f32_e32 v93, 0x3eae86e6, v19
	v_fmac_f32_e32 v86, 0xbeae86e6, v19
	v_add_f32_e32 v19, v29, v88
	v_add_f32_e32 v29, v30, v20
	;; [unrolled: 1-line block ×4, first 2 shown]
	v_fmac_f32_e32 v87, 0x3ee1c552, v16
	v_fmac_f32_e32 v92, 0x3ee1c552, v16
	;; [unrolled: 1-line block ×3, first 2 shown]
	v_sub_f32_e32 v89, v20, v87
	v_add_f32_e32 v87, v87, v20
	v_add_f32_e32 v16, v140, v144
	;; [unrolled: 1-line block ×3, first 2 shown]
	v_mul_f32_e32 v115, v94, v191
	v_mul_f32_e32 v133, v90, v203
	v_add_f32_e32 v23, v23, v88
	v_add_f32_e32 v80, v81, v88
	v_fmac_f32_e32 v93, 0x3ee1c552, v17
	v_fmac_f32_e32 v22, 0x3ee1c552, v17
	;; [unrolled: 1-line block ×3, first 2 shown]
	v_sub_f32_e32 v5, v29, v92
	v_add_f32_e32 v81, v92, v29
	v_add_f32_e32 v17, v141, v145
	;; [unrolled: 1-line block ×5, first 2 shown]
	v_fmac_f32_e32 v115, v95, v190
	v_fmac_f32_e32 v133, v91, v202
	v_sub_f32_e32 v90, v23, v22
	v_add_f32_e32 v91, v18, v30
	v_add_f32_e32 v84, v22, v23
	v_sub_f32_e32 v85, v30, v18
	v_sub_f32_e32 v22, v138, v142
	v_add_f32_e32 v30, v113, v137
	v_sub_f32_e32 v92, v136, v112
	v_add_f32_e32 v95, v21, v17
	v_sub_f32_e32 v96, v20, v16
	v_sub_f32_e32 v16, v16, v29
	;; [unrolled: 1-line block ×3, first 2 shown]
	v_add_f32_e32 v29, v29, v94
	v_mul_f32_e32 v11, v98, v189
	v_add_f32_e32 v4, v93, v19
	v_add_f32_e32 v88, v86, v80
	v_sub_f32_e32 v86, v80, v86
	v_sub_f32_e32 v80, v19, v93
	;; [unrolled: 1-line block ×10, first 2 shown]
	v_add_f32_e32 v30, v30, v95
	v_add_f32_e32 v82, v82, v29
	v_mul_f32_e32 v7, v106, v45
	v_fmac_f32_e32 v11, v99, v188
	v_add_f32_e32 v98, v92, v22
	v_add_f32_e32 v99, v93, v23
	v_sub_f32_e32 v101, v93, v23
	v_sub_f32_e32 v22, v22, v18
	;; [unrolled: 1-line block ×3, first 2 shown]
	v_add_f32_e32 v83, v83, v30
	v_mul_f32_e32 v106, 0xbf08b237, v100
	v_mov_b32_e32 v100, v82
	v_fmac_f32_e32 v7, v107, v44
	v_sub_f32_e32 v92, v18, v92
	v_sub_f32_e32 v93, v19, v93
	v_add_f32_e32 v18, v98, v18
	v_add_f32_e32 v19, v99, v19
	v_mul_f32_e32 v16, 0x3f4a47b2, v16
	v_mul_f32_e32 v17, 0x3f4a47b2, v17
	;; [unrolled: 1-line block ×7, first 2 shown]
	v_fmac_f32_e32 v100, 0xbf955555, v29
	v_mov_b32_e32 v29, v83
	v_fmac_f32_e32 v29, 0xbf955555, v30
	v_fma_f32 v30, v96, s4, -v94
	v_fma_f32 v94, v97, s4, -v95
	;; [unrolled: 1-line block ×3, first 2 shown]
	v_fmac_f32_e32 v16, 0x3d64c772, v20
	v_fma_f32 v20, v97, s3, -v17
	v_fmac_f32_e32 v17, 0x3d64c772, v21
	v_fma_f32 v21, v22, s5, -v106
	v_fma_f32 v22, v23, s5, -v107
	v_fmac_f32_e32 v107, 0x3eae86e6, v93
	v_fmac_f32_e32 v99, 0xbeae86e6, v92
	;; [unrolled: 1-line block ×4, first 2 shown]
	v_add_f32_e32 v16, v16, v100
	v_add_f32_e32 v23, v30, v100
	;; [unrolled: 1-line block ×5, first 2 shown]
	v_fmac_f32_e32 v107, 0x3ee1c552, v19
	v_fmac_f32_e32 v99, 0x3ee1c552, v18
	v_fmac_f32_e32 v98, 0x3ee1c552, v19
	v_mul_f32_e32 v9, v102, v47
	v_add_f32_e32 v17, v17, v29
	v_fmac_f32_e32 v106, 0x3ee1c552, v18
	v_fmac_f32_e32 v21, 0x3ee1c552, v18
	;; [unrolled: 1-line block ×3, first 2 shown]
	v_add_f32_e32 v102, v107, v16
	v_add_f32_e32 v96, v98, v94
	v_sub_f32_e32 v97, v20, v99
	v_sub_f32_e32 v98, v94, v98
	v_add_f32_e32 v99, v99, v20
	v_sub_f32_e32 v94, v16, v107
	v_add_f32_e32 v16, v108, v110
	v_add_f32_e32 v20, v14, v105
	v_fmac_f32_e32 v9, v103, v46
	v_sub_f32_e32 v103, v17, v106
	v_sub_f32_e32 v100, v23, v22
	v_add_f32_e32 v101, v21, v30
	v_add_f32_e32 v92, v22, v23
	v_sub_f32_e32 v93, v30, v21
	v_add_f32_e32 v95, v106, v17
	v_add_f32_e32 v17, v104, v111
	;; [unrolled: 1-line block ×4, first 2 shown]
	v_sub_f32_e32 v0, v12, v0
	v_add_f32_e32 v12, v20, v16
	v_sub_f32_e32 v18, v108, v110
	v_sub_f32_e32 v14, v14, v105
	v_add_f32_e32 v23, v1, v13
	v_sub_f32_e32 v1, v13, v1
	v_add_f32_e32 v13, v21, v17
	v_add_f32_e32 v12, v22, v12
	v_sub_f32_e32 v19, v104, v111
	v_sub_f32_e32 v15, v15, v109
	v_add_f32_e32 v104, v0, v14
	v_sub_f32_e32 v106, v0, v14
	v_sub_f32_e32 v108, v18, v0
	v_add_f32_e32 v13, v23, v13
	v_add_f32_e32 v0, v76, v12
	v_sub_f32_e32 v29, v20, v16
	v_sub_f32_e32 v30, v21, v17
	v_sub_f32_e32 v16, v16, v22
	v_sub_f32_e32 v17, v17, v23
	v_sub_f32_e32 v20, v22, v20
	v_sub_f32_e32 v21, v23, v21
	v_add_f32_e32 v105, v1, v15
	v_sub_f32_e32 v107, v1, v15
	v_sub_f32_e32 v109, v19, v1
	;; [unrolled: 1-line block ×3, first 2 shown]
	v_add_f32_e32 v1, v77, v13
	v_mov_b32_e32 v76, v0
	v_sub_f32_e32 v15, v15, v19
	v_add_f32_e32 v19, v105, v19
	v_mul_f32_e32 v16, 0x3f4a47b2, v16
	v_mul_f32_e32 v17, 0x3f4a47b2, v17
	v_mul_f32_e32 v22, 0x3d64c772, v20
	v_mul_f32_e32 v23, 0x3d64c772, v21
	v_mul_f32_e32 v105, 0xbf08b237, v106
	v_mul_f32_e32 v136, 0xbf5ff5aa, v14
	v_fmac_f32_e32 v76, 0xbf955555, v12
	v_mov_b32_e32 v12, v1
	v_add_f32_e32 v18, v104, v18
	v_mul_f32_e32 v104, 0xbf08b237, v107
	v_fmac_f32_e32 v12, 0xbf955555, v13
	v_fma_f32 v13, v29, s4, -v22
	v_fma_f32 v22, v30, s4, -v23
	;; [unrolled: 1-line block ×3, first 2 shown]
	v_fmac_f32_e32 v16, 0x3d64c772, v20
	v_fma_f32 v20, v30, s3, -v17
	v_fmac_f32_e32 v17, 0x3d64c772, v21
	v_fma_f32 v14, v14, s5, -v105
	v_fmac_f32_e32 v136, 0xbeae86e6, v108
	v_mul_f32_e32 v137, 0xbf5ff5aa, v15
	v_fma_f32 v15, v15, s5, -v104
	v_fmac_f32_e32 v104, 0x3eae86e6, v109
	v_add_f32_e32 v17, v17, v12
	v_add_f32_e32 v21, v22, v12
	v_add_f32_e32 v12, v20, v12
	v_fmac_f32_e32 v14, 0x3ee1c552, v18
	v_fmac_f32_e32 v136, 0x3ee1c552, v18
	;; [unrolled: 1-line block ×4, first 2 shown]
	v_add_f32_e32 v16, v16, v76
	v_add_f32_e32 v13, v13, v76
	v_fmac_f32_e32 v104, 0x3ee1c552, v19
	v_fmac_f32_e32 v15, 0x3ee1c552, v19
	v_sub_f32_e32 v107, v12, v136
	v_add_f32_e32 v111, v14, v21
	v_sub_f32_e32 v77, v21, v14
	v_add_f32_e32 v109, v136, v12
	v_add_f32_e32 v12, v6, v134
	;; [unrolled: 1-line block ×4, first 2 shown]
	v_fmac_f32_e32 v105, 0x3ee1c552, v18
	v_fmac_f32_e32 v137, 0x3ee1c552, v19
	v_add_f32_e32 v112, v104, v16
	v_sub_f32_e32 v110, v13, v15
	v_add_f32_e32 v76, v15, v13
	v_sub_f32_e32 v104, v16, v104
	v_add_f32_e32 v13, v7, v135
	v_add_f32_e32 v15, v9, v133
	v_sub_f32_e32 v8, v8, v132
	v_add_f32_e32 v16, v10, v114
	v_sub_f32_e32 v10, v114, v10
	;; [unrolled: 2-line block ×5, first 2 shown]
	v_sub_f32_e32 v9, v9, v133
	v_add_f32_e32 v17, v11, v115
	v_sub_f32_e32 v11, v115, v11
	v_add_f32_e32 v19, v15, v13
	v_sub_f32_e32 v20, v14, v12
	v_sub_f32_e32 v12, v12, v16
	;; [unrolled: 1-line block ×3, first 2 shown]
	v_add_f32_e32 v22, v10, v8
	v_add_f32_e32 v16, v16, v18
	v_sub_f32_e32 v7, v7, v135
	v_sub_f32_e32 v21, v15, v13
	;; [unrolled: 1-line block ×4, first 2 shown]
	v_add_f32_e32 v23, v11, v9
	v_sub_f32_e32 v29, v10, v8
	v_sub_f32_e32 v10, v6, v10
	v_sub_f32_e32 v8, v8, v6
	v_add_f32_e32 v17, v17, v19
	v_add_f32_e32 v18, v22, v6
	;; [unrolled: 1-line block ×3, first 2 shown]
	v_sub_f32_e32 v30, v11, v9
	v_sub_f32_e32 v11, v7, v11
	;; [unrolled: 1-line block ×3, first 2 shown]
	v_add_f32_e32 v19, v23, v7
	v_add_f32_e32 v7, v79, v17
	v_mov_b32_e32 v78, v6
	v_mul_f32_e32 v12, 0x3f4a47b2, v12
	v_mul_f32_e32 v13, 0x3f4a47b2, v13
	;; [unrolled: 1-line block ×7, first 2 shown]
	v_fmac_f32_e32 v78, 0xbf955555, v16
	v_mov_b32_e32 v16, v7
	v_mul_f32_e32 v133, 0xbf5ff5aa, v9
	v_fmac_f32_e32 v16, 0xbf955555, v17
	v_fma_f32 v17, v20, s4, -v22
	v_fma_f32 v22, v21, s4, -v23
	;; [unrolled: 1-line block ×3, first 2 shown]
	v_fmac_f32_e32 v12, 0x3d64c772, v14
	v_fma_f32 v14, v21, s3, -v13
	v_fmac_f32_e32 v13, 0x3d64c772, v15
	v_fma_f32 v15, v8, s5, -v29
	v_fma_f32 v8, v9, s5, -v30
	v_fmac_f32_e32 v132, 0xbeae86e6, v10
	v_fmac_f32_e32 v30, 0x3eae86e6, v11
	;; [unrolled: 1-line block ×3, first 2 shown]
	v_add_f32_e32 v11, v13, v16
	v_add_f32_e32 v9, v17, v78
	;; [unrolled: 1-line block ×4, first 2 shown]
	v_fmac_f32_e32 v15, 0x3ee1c552, v18
	v_fmac_f32_e32 v8, 0x3ee1c552, v19
	v_fmac_f32_e32 v132, 0x3ee1c552, v18
	v_fmac_f32_e32 v29, 0x3eae86e6, v10
	v_add_f32_e32 v10, v12, v78
	v_add_f32_e32 v20, v20, v78
	v_sub_f32_e32 v13, v16, v132
	v_sub_f32_e32 v78, v9, v8
	v_add_f32_e32 v79, v15, v17
	v_add_f32_e32 v8, v8, v9
	v_sub_f32_e32 v9, v17, v15
	v_add_f32_e32 v15, v132, v16
	v_mul_u32_u24_sdwa v16, v130, s16 dst_sel:DWORD dst_unused:UNUSED_PAD src0_sel:BYTE_1 src1_sel:DWORD
	v_add_lshl_u32 v16, v16, v131, 3
	ds_write2_b64 v16, v[2:3], v[4:5] offset1:28
	ds_write2_b64 v16, v[88:89], v[90:91] offset0:56 offset1:84
	ds_write2_b64 v16, v[84:85], v[86:87] offset0:112 offset1:140
	v_mad_legacy_u16 v2, v124, s16, v125
	v_lshlrev_b32_e32 v2, 3, v2
	buffer_store_dword v16, off, s[24:27], 0 offset:260 ; 4-byte Folded Spill
	ds_write_b64 v16, v[80:81] offset:1344
	buffer_store_dword v2, off, s[24:27], 0 offset:264 ; 4-byte Folded Spill
	ds_write2_b64 v2, v[82:83], v[102:103] offset1:28
	ds_write2_b64 v2, v[96:97], v[100:101] offset0:56 offset1:84
	ds_write2_b64 v2, v[92:93], v[98:99] offset0:112 offset1:140
	ds_write_b64 v2, v[94:95] offset:1344
	v_mad_legacy_u16 v2, v126, s16, v127
	v_lshlrev_b32_e32 v2, 3, v2
	v_fmac_f32_e32 v29, 0x3ee1c552, v18
	v_fmac_f32_e32 v30, 0x3ee1c552, v19
	;; [unrolled: 1-line block ×3, first 2 shown]
	buffer_store_dword v2, off, s[24:27], 0 offset:268 ; 4-byte Folded Spill
	ds_write2_b64 v2, v[0:1], v[112:113] offset1:28
	ds_write2_b64 v2, v[106:107], v[110:111] offset0:56 offset1:84
	ds_write2_b64 v2, v[76:77], v[108:109] offset0:112 offset1:140
	ds_write_b64 v2, v[104:105] offset:1344
	v_mad_legacy_u16 v0, v128, s16, v129
	v_add_f32_e32 v114, v30, v10
	v_sub_f32_e32 v115, v11, v29
	v_sub_f32_e32 v14, v20, v133
	v_lshlrev_b32_e32 v0, 3, v0
	v_add_f32_e32 v12, v133, v20
	v_sub_f32_e32 v10, v10, v30
	v_add_f32_e32 v11, v29, v11
	buffer_store_dword v0, off, s[24:27], 0 offset:272 ; 4-byte Folded Spill
	ds_write2_b64 v0, v[6:7], v[114:115] offset1:28
	ds_write2_b64 v0, v[12:13], v[78:79] offset0:56 offset1:84
	ds_write2_b64 v0, v[8:9], v[14:15] offset0:112 offset1:140
	ds_write_b64 v0, v[10:11] offset:1344
	v_mad_u64_u32 v[13:14], s[8:9], v210, 24, s[10:11]
	s_waitcnt vmcnt(0) lgkmcnt(0)
	s_barrier
	ds_read2_b64 v[112:115], v211 offset1:196
	ds_read2_b64 v[100:103], v158 offset0:24 offset1:220
	ds_read2_b64 v[0:3], v149 offset0:56 offset1:252
	;; [unrolled: 1-line block ×6, first 2 shown]
	ds_read2_b64 v[86:89], v24 offset1:196
	ds_read2_b64 v[90:93], v150 offset0:40 offset1:236
	ds_read2_b64 v[94:97], v151 offset0:32 offset1:228
	ds_read2_b64 v[104:107], v157 offset0:16 offset1:212
	ds_read2_b64 v[124:127], v148 offset0:8 offset1:204
	ds_read2_b64 v[128:131], v152 offset0:48 offset1:244
	ds_read2_b64 v[132:135], v27 offset0:40 offset1:236
	global_load_dwordx2 v[248:249], v[13:14], off offset:1528
	global_load_dwordx4 v[76:79], v[13:14], off offset:1512
	v_mov_b32_e32 v29, v149
	v_mov_b32_e32 v23, v148
	;; [unrolled: 1-line block ×5, first 2 shown]
	s_waitcnt vmcnt(1) lgkmcnt(8)
	v_mul_f32_e32 v136, v82, v249
	s_waitcnt vmcnt(0)
	v_mul_f32_e32 v4, v103, v77
	v_fma_f32 v13, v102, v76, -v4
	v_mul_f32_e32 v4, v1, v79
	v_fma_f32 v15, v0, v78, -v4
	v_mul_f32_e32 v16, v0, v79
	v_mul_f32_e32 v0, v8, v249
	v_fma_f32 v17, v7, v248, -v0
	v_mul_f32_e32 v0, v10, v77
	v_fma_f32 v19, v9, v76, -v0
	v_mul_f32_e32 v0, v3, v79
	v_mul_f32_e32 v14, v102, v77
	v_fma_f32 v21, v2, v78, -v0
	v_mul_f32_e32 v0, v83, v249
	v_fmac_f32_e32 v14, v103, v76
	v_fma_f32 v103, v82, v248, -v0
	v_mul_u32_u24_e32 v0, 0xa73, v122
	v_lshrrev_b32_e32 v0, 17, v0
	v_mul_lo_u16_e32 v0, 0xc4, v0
	v_sub_u16_e32 v0, v116, v0
	v_fmac_f32_e32 v16, v1, v78
	v_mul_lo_u16_e32 v1, 24, v0
	v_add_co_u32_e32 v1, vcc, s10, v1
	v_mul_f32_e32 v102, v2, v79
	v_addc_co_u32_e32 v2, vcc, 0, v118, vcc
	v_fmac_f32_e32 v136, v83, v248
	global_load_dwordx2 v[224:225], v[1:2], off offset:1528
	global_load_dwordx4 v[80:83], v[1:2], off offset:1512
	v_fmac_f32_e32 v102, v3, v78
	v_mul_f32_e32 v18, v7, v249
	v_fmac_f32_e32 v18, v8, v248
	v_mul_f32_e32 v20, v9, v77
	v_fmac_f32_e32 v20, v10, v76
	v_sub_f32_e32 v10, v13, v17
	v_sub_f32_e32 v9, v14, v18
	;; [unrolled: 1-line block ×6, first 2 shown]
	v_lshlrev_b32_e32 v0, 3, v0
	s_waitcnt vmcnt(1)
	v_mul_f32_e32 v140, v84, v225
	s_waitcnt vmcnt(0)
	v_mul_f32_e32 v1, v12, v81
	v_fma_f32 v116, v11, v80, -v1
	s_waitcnt lgkmcnt(6)
	v_mul_f32_e32 v1, v87, v83
	v_fma_f32 v137, v86, v82, -v1
	v_mul_f32_e32 v1, v85, v225
	v_fma_f32 v139, v84, v224, -v1
	v_mul_u32_u24_e32 v1, 0xa73, v123
	v_lshrrev_b32_e32 v1, 17, v1
	v_mul_lo_u16_e32 v1, 0xc4, v1
	v_sub_u16_e32 v1, v117, v1
	v_mul_lo_u16_e32 v2, 24, v1
	v_add_co_u32_e32 v2, vcc, s10, v2
	v_mul_f32_e32 v138, v86, v83
	v_addc_co_u32_e32 v3, vcc, 0, v118, vcc
	v_fmac_f32_e32 v138, v87, v82
	v_fmac_f32_e32 v140, v85, v224
	global_load_dwordx2 v[238:239], v[2:3], off offset:1528
	global_load_dwordx4 v[84:87], v[2:3], off offset:1512
	v_mul_f32_e32 v122, v11, v81
	v_fmac_f32_e32 v122, v12, v80
	v_sub_f32_e32 v11, v112, v15
	v_fma_f32 v15, v114, 2.0, -v21
	v_sub_f32_e32 v12, v113, v16
	v_fma_f32 v16, v115, 2.0, -v102
	v_sub_f32_e32 v115, v109, v138
	v_fma_f32 v109, v109, 2.0, -v115
	s_waitcnt vmcnt(1) lgkmcnt(4)
	v_mul_f32_e32 v144, v94, v239
	s_waitcnt vmcnt(0)
	v_mul_f32_e32 v2, v91, v85
	v_fma_f32 v117, v90, v84, -v2
	v_mul_f32_e32 v2, v89, v87
	v_fma_f32 v141, v88, v86, -v2
	;; [unrolled: 2-line block ×3, first 2 shown]
	v_lshrrev_b16_e32 v2, 2, v121
	v_mul_u32_u24_e32 v2, 0xa73, v2
	v_lshrrev_b32_e32 v2, 17, v2
	v_mul_lo_u16_e32 v2, 0xc4, v2
	v_sub_u16_e32 v2, v121, v2
	v_mul_lo_u16_e32 v3, 24, v2
	v_add_co_u32_e32 v3, vcc, s10, v3
	v_mul_f32_e32 v123, v90, v85
	v_mul_f32_e32 v142, v88, v87
	v_addc_co_u32_e32 v4, vcc, 0, v118, vcc
	v_fmac_f32_e32 v123, v91, v84
	v_fmac_f32_e32 v142, v89, v86
	global_load_dwordx2 v[254:255], v[3:4], off offset:1528
	global_load_dwordx4 v[88:91], v[3:4], off offset:1512
	v_fmac_f32_e32 v144, v95, v238
	v_sub_f32_e32 v121, v111, v142
	s_waitcnt vmcnt(1)
	v_mul_f32_e32 v148, v96, v255
	s_waitcnt vmcnt(0)
	v_mul_f32_e32 v3, v93, v89
	v_fma_f32 v145, v92, v88, -v3
	s_waitcnt lgkmcnt(2)
	v_mul_f32_e32 v3, v125, v91
	v_fma_f32 v147, v124, v90, -v3
	v_mul_f32_e32 v124, v124, v91
	v_mul_f32_e32 v3, v97, v255
	v_fmac_f32_e32 v124, v125, v90
	v_fma_f32 v125, v96, v254, -v3
	v_lshrrev_b16_e32 v3, 2, v119
	v_mul_u32_u24_e32 v3, 0xa73, v3
	v_lshrrev_b32_e32 v3, 17, v3
	v_mul_lo_u16_e32 v3, 0xc4, v3
	v_sub_u16_e32 v3, v119, v3
	v_mul_lo_u16_e32 v4, 24, v3
	v_add_co_u32_e32 v7, vcc, s10, v4
	v_mul_f32_e32 v146, v92, v89
	v_addc_co_u32_e32 v8, vcc, 0, v118, vcc
	v_fmac_f32_e32 v146, v93, v88
	global_load_dwordx2 v[226:227], v[7:8], off offset:1528
	global_load_dwordx4 v[92:95], v[7:8], off offset:1512
	v_fmac_f32_e32 v148, v97, v254
	v_sub_f32_e32 v119, v117, v143
	v_sub_f32_e32 v125, v145, v125
	s_waitcnt vmcnt(0) lgkmcnt(1)
	v_mul_f32_e32 v4, v129, v93
	v_fma_f32 v149, v128, v92, -v4
	v_mul_f32_e32 v128, v128, v93
	v_mul_f32_e32 v4, v127, v95
	v_fmac_f32_e32 v128, v129, v92
	v_fma_f32 v129, v126, v94, -v4
	s_waitcnt lgkmcnt(0)
	v_mul_f32_e32 v4, v133, v227
	v_fma_f32 v151, v132, v226, -v4
	v_lshrrev_b16_e32 v4, 2, v120
	v_mul_u32_u24_e32 v4, 0xa73, v4
	v_lshrrev_b32_e32 v4, 17, v4
	v_mul_lo_u16_e32 v4, 0xc4, v4
	v_sub_u16_e32 v4, v120, v4
	v_mul_lo_u16_e32 v7, 24, v4
	v_add_co_u32_e32 v7, vcc, s10, v7
	v_addc_co_u32_e32 v8, vcc, 0, v118, vcc
	global_load_dwordx2 v[200:201], v[7:8], off offset:1528
	global_load_dwordx4 v[96:99], v[7:8], off offset:1512
	v_sub_f32_e32 v120, v123, v144
	v_fma_f32 v118, v111, 2.0, -v121
	v_fma_f32 v111, v123, 2.0, -v120
	;; [unrolled: 1-line block ×3, first 2 shown]
	v_sub_f32_e32 v113, v116, v139
	v_sub_f32_e32 v111, v118, v111
	v_mul_f32_e32 v150, v126, v95
	v_fmac_f32_e32 v150, v127, v94
	v_mul_f32_e32 v132, v132, v227
	v_sub_f32_e32 v127, v105, v124
	v_sub_f32_e32 v124, v146, v148
	v_fmac_f32_e32 v132, v133, v226
	v_fma_f32 v123, v105, 2.0, -v127
	v_fma_f32 v105, v146, 2.0, -v124
	v_sub_f32_e32 v133, v107, v150
	v_sub_f32_e32 v132, v128, v132
	s_waitcnt vmcnt(0)
	s_barrier
	v_sub_f32_e32 v105, v123, v105
	v_fma_f32 v123, v123, 2.0, -v105
	v_mul_f32_e32 v7, v131, v97
	v_fma_f32 v152, v130, v96, -v7
	v_mul_f32_e32 v7, v6, v99
	v_mul_f32_e32 v155, v5, v99
	v_fma_f32 v154, v5, v98, -v7
	v_fmac_f32_e32 v155, v6, v98
	v_mul_f32_e32 v5, v135, v201
	v_fma_f32 v6, v14, 2.0, -v9
	v_fma_f32 v14, v20, 2.0, -v17
	v_sub_f32_e32 v17, v21, v17
	v_fma_f32 v156, v134, v200, -v5
	v_fma_f32 v7, v112, 2.0, -v11
	v_fma_f32 v5, v13, 2.0, -v10
	;; [unrolled: 1-line block ×4, first 2 shown]
	v_sub_f32_e32 v21, v108, v137
	v_sub_f32_e32 v112, v122, v140
	v_fma_f32 v103, v122, 2.0, -v112
	v_sub_f32_e32 v112, v21, v112
	v_add_f32_e32 v18, v102, v18
	v_fma_f32 v108, v108, 2.0, -v21
	v_fma_f32 v114, v21, 2.0, -v112
	v_sub_f32_e32 v21, v110, v141
	v_fma_f32 v20, v102, 2.0, -v18
	v_fma_f32 v102, v116, 2.0, -v113
	;; [unrolled: 1-line block ×5, first 2 shown]
	v_sub_f32_e32 v118, v21, v120
	v_fma_f32 v120, v21, 2.0, -v118
	v_sub_f32_e32 v21, v104, v147
	v_mul_f32_e32 v153, v130, v97
	v_sub_f32_e32 v124, v21, v124
	v_fmac_f32_e32 v153, v131, v96
	v_fma_f32 v122, v104, 2.0, -v21
	v_fma_f32 v126, v21, 2.0, -v124
	v_sub_f32_e32 v21, v106, v129
	v_sub_f32_e32 v131, v149, v151
	v_fma_f32 v129, v106, 2.0, -v21
	v_fma_f32 v130, v107, 2.0, -v133
	;; [unrolled: 1-line block ×4, first 2 shown]
	v_mul_f32_e32 v134, v134, v201
	v_sub_f32_e32 v106, v129, v106
	v_sub_f32_e32 v107, v130, v107
	v_fmac_f32_e32 v134, v135, v200
	v_sub_f32_e32 v5, v7, v5
	v_sub_f32_e32 v6, v8, v6
	;; [unrolled: 1-line block ×3, first 2 shown]
	v_add_f32_e32 v10, v12, v10
	v_fma_f32 v128, v129, 2.0, -v106
	v_fma_f32 v129, v130, 2.0, -v107
	v_sub_f32_e32 v130, v21, v132
	v_fma_f32 v7, v7, 2.0, -v5
	v_fma_f32 v8, v8, 2.0, -v6
	;; [unrolled: 1-line block ×4, first 2 shown]
	v_sub_f32_e32 v13, v15, v13
	v_sub_f32_e32 v14, v16, v14
	v_fma_f32 v132, v21, 2.0, -v130
	v_sub_f32_e32 v21, v100, v154
	v_sub_f32_e32 v139, v101, v155
	;; [unrolled: 1-line block ×4, first 2 shown]
	v_fma_f32 v15, v15, 2.0, -v13
	v_fma_f32 v16, v16, 2.0, -v14
	v_sub_f32_e32 v102, v108, v102
	v_sub_f32_e32 v103, v109, v103
	v_add_f32_e32 v113, v115, v113
	v_fma_f32 v135, v100, 2.0, -v21
	v_fma_f32 v136, v101, 2.0, -v139
	;; [unrolled: 1-line block ×4, first 2 shown]
	ds_write2_b64 v211, v[7:8], v[11:12] offset1:196
	ds_write2_b64 v212, v[5:6], v[9:10] offset0:8 offset1:204
	ds_write2_b64 v157, v[15:16], v[19:20] offset0:16 offset1:212
	;; [unrolled: 1-line block ×3, first 2 shown]
	v_add_u32_e32 v5, 0x3000, v0
	v_add_u32_e32 v0, 0x3c00, v0
	v_sub_f32_e32 v100, v135, v100
	v_sub_f32_e32 v101, v136, v101
	buffer_store_dword v0, off, s[24:27], 0 offset:280 ; 4-byte Folded Spill
	ds_write2_b64 v0, v[102:103], v[112:113] offset0:40 offset1:236
	v_lshlrev_b32_e32 v0, 3, v1
	v_sub_f32_e32 v110, v116, v110
	v_add_f32_e32 v119, v121, v119
	v_fma_f32 v134, v135, 2.0, -v100
	v_fma_f32 v135, v136, 2.0, -v101
	v_sub_f32_e32 v136, v21, v138
	v_add_u32_e32 v1, 0x4800, v0
	v_add_u32_e32 v0, 0x5400, v0
	v_fma_f32 v116, v116, 2.0, -v110
	v_fma_f32 v121, v121, 2.0, -v119
	v_fma_f32 v104, v145, 2.0, -v125
	v_fma_f32 v138, v21, 2.0, -v136
	buffer_store_dword v0, off, s[24:27], 0 offset:288 ; 4-byte Folded Spill
	ds_write2_b64 v0, v[110:111], v[118:119] offset0:56 offset1:252
	v_lshlrev_b32_e32 v0, 3, v2
	v_mad_u64_u32 v[20:21], s[8:9], v210, 48, s[10:11]
	v_sub_f32_e32 v104, v122, v104
	v_add_f32_e32 v125, v127, v125
	buffer_store_dword v1, off, s[24:27], 0 offset:284 ; 4-byte Folded Spill
	ds_write2_b64 v1, v[116:117], v[120:121] offset0:48 offset1:244
	v_add_u32_e32 v1, 0x6200, v0
	v_add_u32_e32 v0, 0x6e00, v0
	v_fma_f32 v122, v122, 2.0, -v104
	v_fma_f32 v127, v127, 2.0, -v125
	buffer_store_dword v0, off, s[24:27], 0 offset:296 ; 4-byte Folded Spill
	ds_write2_b64 v0, v[104:105], v[124:125] offset0:8 offset1:204
	v_lshlrev_b32_e32 v0, 3, v3
	v_add_f32_e32 v131, v133, v131
	buffer_store_dword v1, off, s[24:27], 0 offset:292 ; 4-byte Folded Spill
	ds_write2_b64 v1, v[122:123], v[126:127] offset1:196
	v_add_u32_e32 v1, 0x7a00, v0
	v_add_u32_e32 v0, 0x8600, v0
	s_movk_i32 s8, 0x1848
	v_fma_f32 v133, v133, 2.0, -v131
	buffer_store_dword v0, off, s[24:27], 0 offset:304 ; 4-byte Folded Spill
	ds_write2_b64 v0, v[106:107], v[130:131] offset0:24 offset1:220
	v_lshlrev_b32_e32 v0, 3, v4
	v_add_co_u32_e32 v9, vcc, s8, v20
	v_add_f32_e32 v137, v139, v137
	buffer_store_dword v1, off, s[24:27], 0 offset:300 ; 4-byte Folded Spill
	ds_write2_b64 v1, v[128:129], v[132:133] offset0:16 offset1:212
	v_add_u32_e32 v1, 0x9200, v0
	v_add_u32_e32 v0, 0x9e00, v0
	v_addc_co_u32_e32 v10, vcc, 0, v21, vcc
	ds_write2_b64 v0, v[100:101], v[136:137] offset0:40 offset1:236
	v_add_co_u32_e32 v100, vcc, s14, v20
	v_fma_f32 v108, v108, 2.0, -v102
	v_fma_f32 v109, v109, 2.0, -v103
	;; [unrolled: 1-line block ×4, first 2 shown]
	v_addc_co_u32_e32 v101, vcc, 0, v21, vcc
	buffer_store_dword v5, off, s[24:27], 0 offset:276 ; 4-byte Folded Spill
	ds_write2_b64 v5, v[108:109], v[114:115] offset0:32 offset1:228
	buffer_store_dword v1, off, s[24:27], 0 offset:308 ; 4-byte Folded Spill
	ds_write2_b64 v1, v[134:135], v[138:139] offset0:32 offset1:228
	buffer_store_dword v0, off, s[24:27], 0 offset:312 ; 4-byte Folded Spill
	s_waitcnt vmcnt(0) lgkmcnt(0)
	s_barrier
	ds_read2_b64 v[152:155], v211 offset1:196
	ds_read2_b64 v[1:4], v157 offset0:16 offset1:212
	ds_read2_b64 v[5:8], v25 offset0:32 offset1:228
	;; [unrolled: 1-line block ×3, first 2 shown]
	ds_read2_b64 v[122:125], v24 offset1:196
	ds_read2_b64 v[126:129], v26 offset0:16 offset1:212
	ds_read2_b64 v[130:133], v32 offset0:32 offset1:228
	;; [unrolled: 1-line block ×9, first 2 shown]
	global_load_dwordx4 v[108:111], v[100:101], off offset:2120
	s_nop 0
	global_load_dwordx4 v[100:103], v[9:10], off offset:32
	global_load_dwordx4 v[104:107], v[9:10], off offset:16
	s_movk_i32 s8, 0x3d08
	v_mov_b32_e32 v33, v26
	v_add_u32_e32 v32, 0x1800, v211
	v_mov_b32_e32 v30, v31
	s_waitcnt vmcnt(2) lgkmcnt(12)
	v_mul_f32_e32 v0, v2, v109
	v_fma_f32 v218, v1, v108, -v0
	s_waitcnt lgkmcnt(11)
	v_mul_f32_e32 v0, v6, v111
	v_fma_f32 v176, v5, v110, -v0
	s_waitcnt vmcnt(0) lgkmcnt(10)
	v_mul_f32_e32 v0, v12, v105
	v_fma_f32 v184, v11, v104, -v0
	s_waitcnt lgkmcnt(9)
	v_mul_f32_e32 v0, v123, v107
	v_fma_f32 v23, v122, v106, -v0
	s_waitcnt lgkmcnt(8)
	;; [unrolled: 3-line block ×3, first 2 shown]
	v_mul_f32_e32 v0, v131, v103
	v_fma_f32 v26, v130, v102, -v0
	v_add_co_u32_e32 v0, vcc, s8, v20
	v_mul_f32_e32 v223, v1, v109
	v_addc_co_u32_e32 v1, vcc, 0, v21, vcc
	v_mul_f32_e32 v178, v5, v111
	v_add_co_u32_e32 v5, vcc, s7, v20
	v_fmac_f32_e32 v178, v6, v110
	v_mul_f32_e32 v177, v122, v107
	v_addc_co_u32_e32 v6, vcc, 0, v21, vcc
	v_fmac_f32_e32 v177, v123, v106
	global_load_dwordx4 v[120:123], v[5:6], off offset:3336
	global_load_dwordx4 v[112:115], v[0:1], off offset:32
	;; [unrolled: 1-line block ×3, first 2 shown]
	v_fmac_f32_e32 v223, v2, v108
	v_mul_f32_e32 v2, v11, v105
	v_fmac_f32_e32 v2, v12, v104
	s_movk_i32 s7, 0x61c8
	v_mul_f32_e32 v25, v126, v101
	v_mul_f32_e32 v27, v130, v103
	v_fmac_f32_e32 v25, v127, v100
	v_fmac_f32_e32 v27, v131, v102
	s_waitcnt vmcnt(2)
	v_mul_f32_e32 v0, v4, v121
	v_fma_f32 v24, v3, v120, -v0
	v_mul_f32_e32 v0, v8, v123
	v_fma_f32 v22, v7, v122, -v0
	s_waitcnt vmcnt(0)
	v_mul_f32_e32 v0, v14, v117
	v_fma_f32 v12, v13, v116, -v0
	v_mul_f32_e32 v0, v125, v119
	v_mul_f32_e32 v5, v7, v123
	v_fma_f32 v160, v124, v118, -v0
	v_mul_f32_e32 v0, v129, v113
	v_mul_f32_e32 v3, v3, v121
	v_fmac_f32_e32 v5, v8, v122
	v_fma_f32 v8, v128, v112, -v0
	v_mul_f32_e32 v0, v133, v115
	v_fmac_f32_e32 v3, v4, v120
	v_fma_f32 v4, v132, v114, -v0
	v_add_co_u32_e32 v0, vcc, s7, v20
	v_addc_co_u32_e32 v1, vcc, 0, v21, vcc
	v_add_co_u32_e32 v6, vcc, s6, v20
	v_mul_f32_e32 v161, v124, v119
	v_mul_f32_e32 v185, v128, v113
	;; [unrolled: 1-line block ×3, first 2 shown]
	v_addc_co_u32_e32 v7, vcc, 0, v21, vcc
	v_fmac_f32_e32 v161, v125, v118
	v_fmac_f32_e32 v185, v129, v112
	;; [unrolled: 1-line block ×3, first 2 shown]
	global_load_dwordx4 v[132:135], v[6:7], off offset:456
	global_load_dwordx4 v[124:127], v[0:1], off offset:32
	;; [unrolled: 1-line block ×3, first 2 shown]
	v_mul_f32_e32 v13, v13, v117
	v_fmac_f32_e32 v13, v14, v116
	s_mov_b32 s6, 0x8688
	s_waitcnt vmcnt(2) lgkmcnt(5)
	v_mul_f32_e32 v0, v163, v133
	v_fma_f32 v14, v162, v132, -v0
	s_waitcnt lgkmcnt(4)
	v_mul_f32_e32 v0, v167, v135
	v_mul_f32_e32 v19, v162, v133
	v_fma_f32 v6, v166, v134, -v0
	s_waitcnt vmcnt(0) lgkmcnt(3)
	v_mul_f32_e32 v0, v171, v129
	v_fmac_f32_e32 v19, v163, v132
	v_fma_f32 v163, v170, v128, -v0
	s_waitcnt lgkmcnt(2)
	v_mul_f32_e32 v0, v180, v131
	v_fma_f32 v162, v179, v130, -v0
	s_waitcnt lgkmcnt(1)
	v_mul_f32_e32 v0, v16, v125
	;; [unrolled: 3-line block ×3, first 2 shown]
	v_fma_f32 v186, v156, v126, -v0
	v_add_co_u32_e32 v0, vcc, s6, v20
	v_addc_co_u32_e32 v1, vcc, 0, v21, vcc
	v_mul_f32_e32 v175, v15, v125
	v_add_co_u32_e32 v15, vcc, s15, v20
	v_fmac_f32_e32 v175, v16, v124
	v_addc_co_u32_e32 v16, vcc, 0, v21, vcc
	global_load_dwordx4 v[144:147], v[15:16], off offset:1672
	global_load_dwordx4 v[136:139], v[0:1], off offset:32
	;; [unrolled: 1-line block ×3, first 2 shown]
	v_mul_f32_e32 v9, v179, v131
	v_fmac_f32_e32 v9, v180, v130
	v_mul_f32_e32 v187, v156, v127
	v_fmac_f32_e32 v187, v157, v126
	v_add_f32_e32 v157, v176, v10
	v_mul_f32_e32 v11, v166, v135
	v_add_f32_e32 v156, v223, v27
	v_sub_f32_e32 v10, v176, v10
	v_fmac_f32_e32 v11, v167, v134
	v_mul_f32_e32 v7, v170, v129
	v_fmac_f32_e32 v7, v171, v128
	v_sub_f32_e32 v27, v223, v27
	s_mul_hi_u32 s6, s0, 0xffff7320
	s_sub_i32 s6, s6, s0
	s_waitcnt vmcnt(2)
	v_mul_f32_e32 v15, v169, v147
	v_fma_f32 v16, v168, v146, -v15
	s_waitcnt vmcnt(0)
	v_mul_f32_e32 v15, v173, v141
	v_fma_f32 v20, v172, v140, -v15
	v_mul_f32_e32 v15, v182, v143
	v_fma_f32 v180, v181, v142, -v15
	v_mul_f32_e32 v181, v181, v143
	v_mul_f32_e32 v15, v18, v137
	v_fmac_f32_e32 v181, v182, v142
	v_fma_f32 v182, v17, v136, -v15
	v_mul_f32_e32 v183, v17, v137
	v_mul_f32_e32 v15, v159, v139
	;; [unrolled: 1-line block ×4, first 2 shown]
	v_fmac_f32_e32 v183, v18, v136
	v_fma_f32 v17, v158, v138, -v15
	v_mul_f32_e32 v18, v158, v139
	v_add_f32_e32 v15, v218, v26
	v_fma_f32 v0, v164, v144, -v0
	v_fmac_f32_e32 v1, v165, v144
	v_mul_f32_e32 v21, v168, v147
	v_fmac_f32_e32 v18, v159, v138
	v_add_f32_e32 v158, v178, v25
	v_add_f32_e32 v159, v184, v23
	;; [unrolled: 1-line block ×3, first 2 shown]
	v_sub_f32_e32 v23, v23, v184
	v_add_f32_e32 v165, v157, v15
	v_fmac_f32_e32 v21, v169, v146
	v_sub_f32_e32 v26, v218, v26
	v_sub_f32_e32 v25, v178, v25
	;; [unrolled: 1-line block ×3, first 2 shown]
	v_add_f32_e32 v166, v158, v156
	v_sub_f32_e32 v167, v157, v15
	v_sub_f32_e32 v168, v158, v156
	;; [unrolled: 1-line block ×5, first 2 shown]
	v_add_f32_e32 v156, v23, v10
	v_add_f32_e32 v159, v159, v165
	v_sub_f32_e32 v158, v164, v158
	v_add_f32_e32 v157, v2, v25
	v_sub_f32_e32 v171, v23, v10
	v_sub_f32_e32 v23, v26, v23
	;; [unrolled: 1-line block ×3, first 2 shown]
	v_add_f32_e32 v164, v164, v166
	v_add_f32_e32 v26, v156, v26
	;; [unrolled: 1-line block ×3, first 2 shown]
	v_mul_f32_e32 v179, v172, v141
	v_sub_f32_e32 v172, v2, v25
	v_sub_f32_e32 v2, v27, v2
	;; [unrolled: 1-line block ×3, first 2 shown]
	v_add_f32_e32 v27, v157, v27
	v_add_f32_e32 v157, v153, v164
	v_mul_f32_e32 v152, 0x3f4a47b2, v169
	v_mov_b32_e32 v169, v156
	v_mul_f32_e32 v15, 0x3f4a47b2, v15
	v_mul_f32_e32 v153, 0x3d64c772, v170
	;; [unrolled: 1-line block ×6, first 2 shown]
	v_fmac_f32_e32 v169, 0xbf955555, v159
	v_mov_b32_e32 v159, v157
	v_mul_f32_e32 v178, 0xbf5ff5aa, v25
	v_fmac_f32_e32 v159, 0xbf955555, v164
	v_fma_f32 v153, v167, s4, -v153
	v_fma_f32 v164, v168, s4, -v165
	;; [unrolled: 1-line block ×3, first 2 shown]
	v_fmac_f32_e32 v15, 0x3d64c772, v170
	v_fma_f32 v167, v168, s3, -v152
	v_fmac_f32_e32 v152, 0x3d64c772, v158
	v_fma_f32 v10, v10, s5, -v166
	;; [unrolled: 2-line block ×3, first 2 shown]
	v_fmac_f32_e32 v176, 0x3eae86e6, v2
	v_fmac_f32_e32 v177, 0xbeae86e6, v23
	;; [unrolled: 1-line block ×3, first 2 shown]
	v_add_f32_e32 v2, v15, v169
	v_add_f32_e32 v15, v152, v159
	;; [unrolled: 1-line block ×3, first 2 shown]
	v_fmac_f32_e32 v166, 0x3ee1c552, v26
	v_fmac_f32_e32 v176, 0x3ee1c552, v27
	v_fmac_f32_e32 v177, 0x3ee1c552, v26
	v_fmac_f32_e32 v179, v173, v140
	v_add_f32_e32 v23, v153, v169
	v_add_f32_e32 v152, v164, v159
	v_fmac_f32_e32 v10, 0x3ee1c552, v26
	v_fmac_f32_e32 v25, 0x3ee1c552, v27
	v_add_f32_e32 v172, v176, v2
	v_sub_f32_e32 v173, v15, v166
	v_sub_f32_e32 v171, v158, v177
	v_add_f32_e32 v26, v177, v158
	v_sub_f32_e32 v158, v2, v176
	v_add_f32_e32 v159, v166, v15
	v_add_f32_e32 v2, v24, v4
	;; [unrolled: 1-line block ×4, first 2 shown]
	v_fmac_f32_e32 v178, 0x3ee1c552, v27
	v_sub_f32_e32 v168, v23, v25
	v_add_f32_e32 v169, v10, v152
	v_add_f32_e32 v164, v25, v23
	v_sub_f32_e32 v165, v152, v10
	v_add_f32_e32 v10, v3, v29
	v_add_f32_e32 v23, v5, v185
	;; [unrolled: 3-line block ×3, first 2 shown]
	v_sub_f32_e32 v4, v24, v4
	v_sub_f32_e32 v3, v3, v29
	v_add_f32_e32 v24, v13, v161
	v_sub_f32_e32 v12, v160, v12
	v_add_f32_e32 v29, v23, v10
	v_sub_f32_e32 v152, v15, v2
	v_sub_f32_e32 v2, v2, v22
	;; [unrolled: 1-line block ×3, first 2 shown]
	v_add_f32_e32 v22, v22, v27
	v_add_f32_e32 v170, v178, v153
	v_sub_f32_e32 v25, v153, v178
	v_sub_f32_e32 v5, v5, v185
	;; [unrolled: 1-line block ×6, first 2 shown]
	v_add_f32_e32 v160, v12, v8
	v_sub_f32_e32 v166, v12, v8
	v_sub_f32_e32 v176, v4, v12
	v_add_f32_e32 v24, v24, v29
	v_add_f32_e32 v12, v154, v22
	;; [unrolled: 1-line block ×3, first 2 shown]
	v_sub_f32_e32 v167, v13, v5
	v_sub_f32_e32 v177, v3, v13
	v_sub_f32_e32 v8, v8, v4
	v_add_f32_e32 v13, v155, v24
	v_mov_b32_e32 v154, v12
	v_sub_f32_e32 v5, v5, v3
	v_add_f32_e32 v3, v161, v3
	v_mul_f32_e32 v2, 0x3f4a47b2, v2
	v_mul_f32_e32 v10, 0x3f4a47b2, v10
	;; [unrolled: 1-line block ×6, first 2 shown]
	v_fmac_f32_e32 v154, 0xbf955555, v22
	v_mov_b32_e32 v22, v13
	v_add_f32_e32 v4, v160, v4
	v_mul_f32_e32 v160, 0xbf08b237, v167
	v_mul_f32_e32 v184, 0xbf5ff5aa, v5
	v_fmac_f32_e32 v22, 0xbf955555, v24
	v_fma_f32 v24, v152, s4, -v27
	v_fma_f32 v27, v153, s4, -v29
	;; [unrolled: 1-line block ×3, first 2 shown]
	v_fmac_f32_e32 v2, 0x3d64c772, v15
	v_fma_f32 v15, v153, s3, -v10
	v_fmac_f32_e32 v10, 0x3d64c772, v23
	v_fma_f32 v8, v8, s5, -v161
	v_fmac_f32_e32 v161, 0x3eae86e6, v176
	v_fmac_f32_e32 v178, 0xbeae86e6, v176
	v_fma_f32 v23, v5, s5, -v160
	v_fmac_f32_e32 v160, 0x3eae86e6, v177
	v_fmac_f32_e32 v184, 0xbeae86e6, v177
	v_add_f32_e32 v10, v10, v22
	v_add_f32_e32 v27, v27, v22
	v_add_f32_e32 v15, v15, v22
	v_fmac_f32_e32 v161, 0x3ee1c552, v4
	v_fmac_f32_e32 v8, 0x3ee1c552, v4
	;; [unrolled: 1-line block ×3, first 2 shown]
	v_add_f32_e32 v24, v24, v154
	v_fmac_f32_e32 v160, 0x3ee1c552, v3
	v_fmac_f32_e32 v23, 0x3ee1c552, v3
	;; [unrolled: 1-line block ×3, first 2 shown]
	v_sub_f32_e32 v5, v10, v161
	v_sub_f32_e32 v167, v15, v178
	v_add_f32_e32 v3, v8, v27
	v_sub_f32_e32 v155, v27, v8
	v_add_f32_e32 v153, v178, v15
	v_add_f32_e32 v161, v161, v10
	;; [unrolled: 1-line block ×4, first 2 shown]
	v_sub_f32_e32 v15, v19, v187
	v_add_f32_e32 v19, v6, v174
	v_add_f32_e32 v176, v2, v154
	;; [unrolled: 1-line block ×3, first 2 shown]
	v_sub_f32_e32 v2, v24, v23
	v_add_f32_e32 v154, v23, v24
	v_add_f32_e32 v22, v11, v175
	;; [unrolled: 1-line block ×4, first 2 shown]
	v_sub_f32_e32 v7, v9, v7
	v_add_f32_e32 v9, v19, v8
	v_add_f32_e32 v166, v184, v29
	v_sub_f32_e32 v152, v29, v184
	v_sub_f32_e32 v14, v14, v186
	;; [unrolled: 1-line block ×4, first 2 shown]
	v_add_f32_e32 v29, v22, v10
	v_add_f32_e32 v9, v23, v9
	;; [unrolled: 1-line block ×3, first 2 shown]
	v_sub_f32_e32 v160, v176, v160
	v_sub_f32_e32 v11, v11, v175
	;; [unrolled: 1-line block ×5, first 2 shown]
	v_add_f32_e32 v174, v27, v6
	v_sub_f32_e32 v176, v27, v6
	v_sub_f32_e32 v184, v6, v14
	v_add_f32_e32 v23, v24, v29
	v_add_f32_e32 v6, v148, v9
	v_sub_f32_e32 v163, v22, v10
	v_sub_f32_e32 v10, v10, v24
	;; [unrolled: 1-line block ×3, first 2 shown]
	v_add_f32_e32 v175, v7, v11
	v_sub_f32_e32 v177, v7, v11
	v_sub_f32_e32 v178, v15, v7
	v_add_f32_e32 v7, v149, v23
	v_mov_b32_e32 v148, v6
	v_sub_f32_e32 v11, v11, v15
	v_mul_f32_e32 v8, 0x3f4a47b2, v8
	v_mul_f32_e32 v10, 0x3f4a47b2, v10
	;; [unrolled: 1-line block ×5, first 2 shown]
	v_fmac_f32_e32 v148, 0xbf955555, v9
	v_mov_b32_e32 v9, v7
	v_sub_f32_e32 v27, v14, v27
	v_add_f32_e32 v14, v174, v14
	v_mul_f32_e32 v177, 0xbf08b237, v177
	v_mul_f32_e32 v185, 0xbf5ff5aa, v184
	;; [unrolled: 1-line block ×3, first 2 shown]
	v_fmac_f32_e32 v9, 0xbf955555, v23
	v_fma_f32 v23, v162, s4, -v24
	v_fma_f32 v24, v163, s4, -v29
	;; [unrolled: 1-line block ×3, first 2 shown]
	v_fmac_f32_e32 v8, 0x3d64c772, v19
	v_fma_f32 v19, v163, s3, -v10
	v_fmac_f32_e32 v10, 0x3d64c772, v22
	v_fma_f32 v22, v184, s5, -v176
	v_add_f32_e32 v15, v175, v15
	v_fmac_f32_e32 v176, 0x3eae86e6, v27
	v_fma_f32 v11, v11, s5, -v177
	v_fmac_f32_e32 v177, 0x3eae86e6, v178
	v_fmac_f32_e32 v185, 0xbeae86e6, v27
	v_fmac_f32_e32 v218, 0xbeae86e6, v178
	v_add_f32_e32 v27, v10, v9
	v_add_f32_e32 v10, v23, v148
	;; [unrolled: 1-line block ×4, first 2 shown]
	v_fmac_f32_e32 v22, 0x3ee1c552, v14
	v_add_f32_e32 v19, v0, v17
	v_sub_f32_e32 v0, v0, v17
	v_add_f32_e32 v17, v16, v182
	v_add_f32_e32 v8, v8, v148
	;; [unrolled: 1-line block ×3, first 2 shown]
	v_fmac_f32_e32 v176, 0x3ee1c552, v14
	v_fmac_f32_e32 v177, 0x3ee1c552, v15
	v_fmac_f32_e32 v11, 0x3ee1c552, v15
	v_fmac_f32_e32 v185, 0x3ee1c552, v14
	v_fmac_f32_e32 v218, 0x3ee1c552, v15
	v_add_f32_e32 v149, v22, v23
	v_sub_f32_e32 v15, v23, v22
	v_add_f32_e32 v22, v1, v18
	v_sub_f32_e32 v1, v1, v18
	;; [unrolled: 2-line block ×4, first 2 shown]
	v_add_f32_e32 v29, v17, v19
	v_add_f32_e32 v186, v177, v8
	v_sub_f32_e32 v187, v27, v176
	v_add_f32_e32 v174, v218, v24
	v_sub_f32_e32 v175, v9, v185
	v_sub_f32_e32 v148, v10, v11
	v_add_f32_e32 v14, v11, v10
	v_sub_f32_e32 v10, v24, v218
	v_add_f32_e32 v11, v185, v9
	;; [unrolled: 2-line block ×5, first 2 shown]
	v_sub_f32_e32 v163, v17, v19
	v_sub_f32_e32 v19, v19, v23
	;; [unrolled: 1-line block ×3, first 2 shown]
	v_add_f32_e32 v177, v20, v16
	v_add_f32_e32 v23, v23, v29
	v_sub_f32_e32 v176, v18, v22
	v_sub_f32_e32 v22, v22, v24
	;; [unrolled: 1-line block ×3, first 2 shown]
	v_add_f32_e32 v178, v27, v21
	v_sub_f32_e32 v179, v20, v16
	v_sub_f32_e32 v20, v0, v20
	v_sub_f32_e32 v16, v16, v0
	v_add_f32_e32 v24, v24, v162
	v_add_f32_e32 v29, v177, v0
	;; [unrolled: 1-line block ×3, first 2 shown]
	v_sub_f32_e32 v180, v27, v21
	v_sub_f32_e32 v27, v1, v27
	;; [unrolled: 1-line block ×3, first 2 shown]
	v_add_f32_e32 v162, v178, v1
	v_add_f32_e32 v1, v151, v24
	v_mul_f32_e32 v218, 0xbf08b237, v179
	v_mov_b32_e32 v179, v0
	v_mul_f32_e32 v19, 0x3f4a47b2, v19
	v_mul_f32_e32 v22, 0x3f4a47b2, v22
	;; [unrolled: 1-line block ×6, first 2 shown]
	v_fmac_f32_e32 v179, 0xbf955555, v23
	v_mov_b32_e32 v23, v1
	v_mul_f32_e32 v178, 0xbf5ff5aa, v21
	v_fmac_f32_e32 v23, 0xbf955555, v24
	v_fma_f32 v24, v163, s4, -v150
	v_fma_f32 v150, v176, s4, -v151
	;; [unrolled: 1-line block ×3, first 2 shown]
	v_fmac_f32_e32 v19, 0x3d64c772, v17
	v_fma_f32 v17, v176, s3, -v22
	v_fmac_f32_e32 v22, 0x3d64c772, v18
	v_fma_f32 v18, v16, s5, -v218
	v_fma_f32 v16, v21, s5, -v223
	v_fmac_f32_e32 v223, 0x3eae86e6, v27
	v_fmac_f32_e32 v177, 0xbeae86e6, v20
	;; [unrolled: 1-line block ×4, first 2 shown]
	v_add_f32_e32 v19, v19, v179
	v_add_f32_e32 v20, v22, v23
	;; [unrolled: 1-line block ×4, first 2 shown]
	v_fmac_f32_e32 v223, 0x3ee1c552, v162
	v_fmac_f32_e32 v177, 0x3ee1c552, v29
	v_add_f32_e32 v21, v24, v179
	v_add_f32_e32 v24, v151, v179
	v_fmac_f32_e32 v218, 0x3ee1c552, v29
	v_fmac_f32_e32 v18, 0x3ee1c552, v29
	;; [unrolled: 1-line block ×4, first 2 shown]
	v_add_f32_e32 v184, v223, v19
	v_sub_f32_e32 v183, v23, v177
	v_add_f32_e32 v177, v177, v23
	v_sub_f32_e32 v150, v19, v223
	ds_write_b64 v211, v[172:173] offset:6272
	ds_write_b64 v211, v[170:171] offset:12544
	;; [unrolled: 1-line block ×6, first 2 shown]
	ds_write2_b64 v211, v[156:157], v[12:13] offset1:196
	v_add_u32_e32 v223, 0x1e00, v211
	v_add_u32_e32 v23, 0x3600, v211
	;; [unrolled: 1-line block ×6, first 2 shown]
	v_sub_f32_e32 v185, v20, v218
	v_add_f32_e32 v182, v178, v24
	v_sub_f32_e32 v180, v21, v16
	v_add_f32_e32 v181, v18, v22
	v_add_f32_e32 v16, v16, v21
	v_sub_f32_e32 v17, v22, v18
	v_sub_f32_e32 v176, v24, v178
	v_add_f32_e32 v151, v218, v20
	ds_write2_b64 v223, v[4:5], v[186:187] offset0:20 offset1:216
	ds_write2_b64 v23, v[166:167], v[174:175] offset0:36 offset1:232
	;; [unrolled: 1-line block ×7, first 2 shown]
	ds_write_b64 v211, v[184:185] offset:10976
	ds_write_b64 v211, v[182:183] offset:17248
	;; [unrolled: 1-line block ×6, first 2 shown]
	s_waitcnt lgkmcnt(0)
	s_barrier
	global_load_dwordx2 v[0:1], v[228:229], off offset:2944
	ds_read2_b64 v[14:17], v211 offset1:196
	s_mov_b32 s5, 0xab80
	v_add_co_u32_e32 v20, vcc, s5, v28
	v_addc_co_u32_e32 v21, vcc, 0, v217, vcc
	s_mov_b32 s5, 0xc000
	v_add_co_u32_e32 v18, vcc, s5, v28
	v_addc_co_u32_e32 v19, vcc, 0, v217, vcc
	s_mov_b32 s5, 0xd000
	v_add_u32_e32 v29, 0x4800, v211
	v_add_u32_e32 v218, 0x9200, v211
	;; [unrolled: 1-line block ×4, first 2 shown]
	v_mov_b32_e32 v229, v35
	s_waitcnt vmcnt(0) lgkmcnt(0)
	v_mul_f32_e32 v2, v15, v1
	v_mul_f32_e32 v3, v14, v1
	v_fma_f32 v2, v14, v0, -v2
	v_fmac_f32_e32 v3, v15, v0
	global_load_dwordx2 v[0:1], v[18:19], off offset:1024
	ds_write_b64 v211, v[2:3]
	ds_read2_b64 v[149:152], v32 offset0:16 offset1:212
	v_add_co_u32_e32 v14, vcc, s5, v28
	v_addc_co_u32_e32 v15, vcc, 0, v217, vcc
	ds_read2_b64 v[153:156], v31 offset0:32 offset1:228
	s_mov_b32 s5, 0xf000
	ds_read2_b64 v[157:160], v29 offset0:48 offset1:244
	ds_read2_b64 v[161:164], v34 offset1:196
	ds_read2_b64 v[165:168], v33 offset0:16 offset1:212
	ds_read2_b64 v[169:172], v218 offset0:32 offset1:228
	v_mov_b32_e32 v31, v34
	v_mov_b32_e32 v34, v33
	;; [unrolled: 1-line block ×3, first 2 shown]
	s_waitcnt vmcnt(0) lgkmcnt(5)
	v_mul_f32_e32 v2, v150, v1
	v_fma_f32 v148, v149, v0, -v2
	v_mul_f32_e32 v149, v149, v1
	v_fmac_f32_e32 v149, v150, v0
	global_load_dwordx2 v[0:1], v[14:15], off offset:3200
	s_waitcnt vmcnt(0) lgkmcnt(4)
	v_mul_f32_e32 v2, v154, v1
	v_fma_f32 v12, v153, v0, -v2
	v_mul_f32_e32 v13, v153, v1
	v_add_co_u32_e32 v153, vcc, s5, v28
	v_fmac_f32_e32 v13, v154, v0
	v_addc_co_u32_e32 v154, vcc, 0, v217, vcc
	global_load_dwordx2 v[0:1], v[153:154], off offset:1280
	s_mov_b32 s5, 0x10000
	v_add_co_u32_e32 v8, vcc, s5, v28
	v_addc_co_u32_e32 v9, vcc, 0, v217, vcc
	s_mov_b32 s5, 0x12000
	s_waitcnt vmcnt(0) lgkmcnt(3)
	v_mul_f32_e32 v2, v158, v1
	v_mul_f32_e32 v11, v157, v1
	v_fma_f32 v10, v157, v0, -v2
	v_fmac_f32_e32 v11, v158, v0
	global_load_dwordx2 v[0:1], v[8:9], off offset:3456
	v_add_co_u32_e32 v157, vcc, s5, v28
	v_addc_co_u32_e32 v158, vcc, 0, v217, vcc
	s_mov_b32 s5, 0x13000
	s_waitcnt vmcnt(0) lgkmcnt(2)
	v_mul_f32_e32 v2, v162, v1
	v_mul_f32_e32 v7, v161, v1
	v_fma_f32 v6, v161, v0, -v2
	v_fmac_f32_e32 v7, v162, v0
	global_load_dwordx2 v[0:1], v[157:158], off offset:1536
	s_waitcnt vmcnt(0) lgkmcnt(1)
	v_mul_f32_e32 v2, v166, v1
	v_fma_f32 v4, v165, v0, -v2
	v_add_co_u32_e32 v2, vcc, s5, v28
	v_addc_co_u32_e32 v3, vcc, 0, v217, vcc
	global_load_dwordx2 v[161:162], v[2:3], off offset:3712
	v_mul_f32_e32 v5, v165, v1
	v_fmac_f32_e32 v5, v166, v0
	s_mov_b32 s5, 0xe000
	v_add_co_u32_e32 v174, vcc, s5, v28
	v_addc_co_u32_e32 v175, vcc, 0, v217, vcc
	s_mov_b32 s5, 0x11000
	v_add_co_u32_e32 v178, vcc, s5, v28
	v_addc_co_u32_e32 v179, vcc, 0, v217, vcc
	;; [unrolled: 3-line block ×3, first 2 shown]
	s_mov_b32 s5, 0xb000
	s_waitcnt vmcnt(0) lgkmcnt(0)
	v_mul_f32_e32 v0, v170, v162
	v_mul_f32_e32 v1, v169, v162
	v_fma_f32 v0, v169, v161, -v0
	v_fmac_f32_e32 v1, v170, v161
	global_load_dwordx2 v[161:162], v[20:21], off offset:1568
	s_waitcnt vmcnt(0)
	v_mul_f32_e32 v22, v17, v162
	v_mul_f32_e32 v166, v16, v162
	v_fma_f32 v165, v16, v161, -v22
	v_fmac_f32_e32 v166, v17, v161
	global_load_dwordx2 v[16:17], v[18:19], off offset:2592
	s_nop 0
	global_load_dwordx2 v[20:21], v[20:21], off offset:3136
	s_waitcnt vmcnt(1)
	v_mul_f32_e32 v18, v152, v17
	v_mul_f32_e32 v162, v151, v17
	v_fma_f32 v161, v151, v16, -v18
	v_fmac_f32_e32 v162, v152, v16
	global_load_dwordx2 v[16:17], v[174:175], off offset:672
	s_waitcnt vmcnt(0)
	v_mul_f32_e32 v18, v156, v17
	v_mul_f32_e32 v170, v155, v17
	v_fma_f32 v169, v155, v16, -v18
	v_fmac_f32_e32 v170, v156, v16
	;; [unrolled: 6-line block ×4, first 2 shown]
	global_load_dwordx2 v[16:17], v[157:158], off offset:3104
	ds_read2_b64 v[154:157], v228 offset0:40 offset1:236
	s_waitcnt vmcnt(0)
	v_mul_f32_e32 v18, v168, v17
	v_mul_f32_e32 v183, v167, v17
	v_fma_f32 v182, v167, v16, -v18
	v_fmac_f32_e32 v183, v168, v16
	global_load_dwordx2 v[16:17], v[184:185], off offset:1184
	s_waitcnt vmcnt(0)
	v_mul_f32_e32 v18, v172, v17
	v_mul_f32_e32 v187, v171, v17
	v_fma_f32 v186, v171, v16, -v18
	v_fmac_f32_e32 v187, v172, v16
	ds_read2_b64 v[16:19], v212 offset0:8 offset1:204
	s_waitcnt lgkmcnt(0)
	v_mul_f32_e32 v22, v17, v21
	v_mul_f32_e32 v151, v16, v21
	v_fma_f32 v150, v16, v20, -v22
	v_fmac_f32_e32 v151, v17, v20
	v_add_u32_e32 v16, 0x600, v211
	ds_write2_b64 v16, v[165:166], v[150:151] offset0:4 offset1:200
	global_load_dwordx2 v[16:17], v[14:15], off offset:64
	ds_read2_b64 v[150:153], v24 offset0:24 offset1:220
	v_add_u32_e32 v22, 0x8600, v211
	global_load_dwordx2 v[14:15], v[14:15], off offset:1632
	s_waitcnt vmcnt(1) lgkmcnt(0)
	v_mul_f32_e32 v20, v151, v17
	v_mul_f32_e32 v21, v150, v17
	v_fma_f32 v20, v150, v16, -v20
	v_fmac_f32_e32 v21, v151, v16
	global_load_dwordx2 v[16:17], v[174:175], off offset:2240
	ds_write2_b64 v223, v[161:162], v[20:21] offset0:20 offset1:216
	v_add_u32_e32 v223, 0x6e00, v211
	ds_read2_b64 v[162:165], v223 offset0:8 offset1:204
	s_waitcnt vmcnt(0)
	v_mul_f32_e32 v20, v155, v17
	v_mul_f32_e32 v21, v154, v17
	v_fma_f32 v20, v154, v16, -v20
	v_fmac_f32_e32 v21, v155, v16
	global_load_dwordx2 v[16:17], v[8:9], off offset:320
	ds_write2_b64 v23, v[169:170], v[20:21] offset0:36 offset1:232
	v_add_u32_e32 v23, 0x5400, v211
	ds_read2_b64 v[158:161], v23 offset0:56 offset1:252
	ds_read2_b64 v[166:169], v22 offset0:24 offset1:220
	global_load_dwordx2 v[8:9], v[8:9], off offset:1888
	s_waitcnt vmcnt(1) lgkmcnt(1)
	v_mul_f32_e32 v20, v159, v17
	v_mul_f32_e32 v21, v158, v17
	v_fma_f32 v20, v158, v16, -v20
	v_fmac_f32_e32 v21, v159, v16
	global_load_dwordx2 v[16:17], v[178:179], off offset:2496
	ds_write2_b64 v173, v[176:177], v[20:21] offset0:52 offset1:248
	ds_read2_b64 v[170:173], v35 offset0:40 offset1:236
	v_mov_b32_e32 v35, v218
	s_waitcnt vmcnt(0)
	v_mul_f32_e32 v20, v163, v17
	v_mul_f32_e32 v21, v162, v17
	v_fma_f32 v20, v162, v16, -v20
	v_fmac_f32_e32 v21, v163, v16
	global_load_dwordx2 v[16:17], v[2:3], off offset:576
	ds_write2_b64 v25, v[180:181], v[20:21] offset0:4 offset1:200
	global_load_dwordx2 v[2:3], v[2:3], off offset:2144
	s_waitcnt vmcnt(1) lgkmcnt(3)
	v_mul_f32_e32 v20, v167, v17
	v_mul_f32_e32 v21, v166, v17
	v_fma_f32 v20, v166, v16, -v20
	v_fmac_f32_e32 v21, v167, v16
	global_load_dwordx2 v[16:17], v[184:185], off offset:2752
	ds_write2_b64 v26, v[182:183], v[20:21] offset0:20 offset1:216
	s_waitcnt vmcnt(0) lgkmcnt(2)
	v_mul_f32_e32 v20, v171, v17
	v_mul_f32_e32 v21, v170, v17
	v_fma_f32 v20, v170, v16, -v20
	v_fmac_f32_e32 v21, v171, v16
	v_add_co_u32_e32 v16, vcc, s5, v28
	v_addc_co_u32_e32 v17, vcc, 0, v217, vcc
	global_load_dwordx2 v[16:17], v[16:17], off offset:3552
	ds_write2_b64 v27, v[186:187], v[20:21] offset0:36 offset1:232
	s_mov_b32 s5, 0x15000
	s_waitcnt vmcnt(0)
	v_mul_f32_e32 v20, v19, v17
	v_mul_f32_e32 v21, v18, v17
	v_fma_f32 v20, v18, v16, -v20
	v_fmac_f32_e32 v21, v19, v16
	v_add_u32_e32 v16, 0x1200, v211
	ds_write2_b64 v16, v[20:21], v[148:149] offset0:12 offset1:208
	v_mul_f32_e32 v16, v153, v15
	v_mul_f32_e32 v17, v152, v15
	v_fma_f32 v16, v152, v14, -v16
	v_fmac_f32_e32 v17, v153, v14
	v_add_u32_e32 v14, 0x2a00, v211
	ds_write2_b64 v14, v[16:17], v[12:13] offset0:28 offset1:224
	global_load_dwordx2 v[12:13], v[174:175], off offset:3808
	s_waitcnt vmcnt(0)
	v_mul_f32_e32 v14, v157, v13
	v_mul_f32_e32 v15, v156, v13
	v_fma_f32 v14, v156, v12, -v14
	v_fmac_f32_e32 v15, v157, v12
	v_add_u32_e32 v12, 0x4200, v211
	ds_write2_b64 v12, v[14:15], v[10:11] offset0:44 offset1:240
	v_mul_f32_e32 v10, v161, v9
	v_mul_f32_e32 v11, v160, v9
	v_fma_f32 v10, v160, v8, -v10
	v_fmac_f32_e32 v11, v161, v8
	v_add_u32_e32 v8, 0x5b00, v211
	ds_write2_b64 v8, v[10:11], v[6:7] offset0:28 offset1:224
	global_load_dwordx2 v[6:7], v[178:179], off offset:4064
	s_waitcnt vmcnt(0)
	v_mul_f32_e32 v8, v165, v7
	v_mul_f32_e32 v9, v164, v7
	v_fma_f32 v8, v164, v6, -v8
	v_fmac_f32_e32 v9, v165, v6
	v_add_u32_e32 v6, 0x7400, v211
	ds_write2_b64 v6, v[8:9], v[4:5] offset0:12 offset1:208
	v_mul_f32_e32 v4, v169, v3
	v_mul_f32_e32 v5, v168, v3
	v_fma_f32 v4, v168, v2, -v4
	v_fmac_f32_e32 v5, v169, v2
	v_add_u32_e32 v2, 0x8c00, v211
	ds_write2_b64 v2, v[4:5], v[0:1] offset0:28 offset1:224
	v_add_co_u32_e32 v0, vcc, s5, v28
	v_addc_co_u32_e32 v1, vcc, 0, v217, vcc
	global_load_dwordx2 v[0:1], v[0:1], off offset:224
	s_waitcnt vmcnt(0)
	v_mul_f32_e32 v2, v173, v1
	v_mul_f32_e32 v3, v172, v1
	v_fma_f32 v2, v172, v0, -v2
	v_fmac_f32_e32 v3, v173, v0
	ds_write_b64 v211, v[2:3] offset:42336
	s_waitcnt lgkmcnt(0)
	s_barrier
	ds_read2_b64 v[18:21], v211 offset1:196
	ds_read2_b64 v[6:9], v32 offset0:16 offset1:212
	ds_read2_b64 v[10:13], v30 offset0:32 offset1:228
	;; [unrolled: 1-line block ×3, first 2 shown]
	ds_read2_b64 v[184:187], v31 offset1:196
	ds_read2_b64 v[180:183], v34 offset0:16 offset1:212
	ds_read2_b64 v[0:3], v218 offset0:32 offset1:228
	ds_read2_b64 v[148:151], v212 offset0:8 offset1:204
	ds_read2_b64 v[168:171], v24 offset0:24 offset1:220
	v_mov_b32_e32 v31, v24
	ds_read2_b64 v[160:163], v228 offset0:40 offset1:236
	ds_read2_b64 v[152:155], v23 offset0:56 offset1:252
	;; [unrolled: 1-line block ×4, first 2 shown]
	s_waitcnt lgkmcnt(6)
	v_add_f32_e32 v4, v6, v0
	v_sub_f32_e32 v0, v6, v0
	v_add_f32_e32 v6, v10, v180
	v_mov_b32_e32 v32, v22
	v_add_f32_e32 v5, v7, v1
	v_sub_f32_e32 v1, v7, v1
	v_add_f32_e32 v7, v11, v181
	v_add_f32_e32 v22, v14, v184
	;; [unrolled: 1-line block ×3, first 2 shown]
	v_mov_b32_e32 v30, v23
	v_sub_f32_e32 v10, v10, v180
	v_add_f32_e32 v23, v15, v185
	v_sub_f32_e32 v14, v184, v14
	v_add_f32_e32 v25, v7, v5
	v_sub_f32_e32 v26, v6, v4
	v_sub_f32_e32 v4, v4, v22
	;; [unrolled: 1-line block ×3, first 2 shown]
	v_add_f32_e32 v22, v22, v24
	v_sub_f32_e32 v11, v11, v181
	v_sub_f32_e32 v15, v185, v15
	;; [unrolled: 1-line block ×5, first 2 shown]
	v_add_f32_e32 v28, v14, v10
	v_sub_f32_e32 v176, v14, v10
	v_sub_f32_e32 v178, v0, v14
	v_add_f32_e32 v23, v23, v25
	v_add_f32_e32 v14, v18, v22
	;; [unrolled: 1-line block ×3, first 2 shown]
	v_sub_f32_e32 v177, v15, v11
	v_sub_f32_e32 v179, v1, v15
	v_add_f32_e32 v15, v19, v23
	v_mul_f32_e32 v24, 0x3f08b237, v176
	v_mov_b32_e32 v176, v14
	v_sub_f32_e32 v10, v10, v0
	v_sub_f32_e32 v11, v11, v1
	v_mul_f32_e32 v4, 0x3f4a47b2, v4
	v_mul_f32_e32 v5, 0x3f4a47b2, v5
	;; [unrolled: 1-line block ×5, first 2 shown]
	v_fmac_f32_e32 v176, 0xbf955555, v22
	v_mov_b32_e32 v22, v15
	v_add_f32_e32 v0, v28, v0
	v_add_f32_e32 v1, v29, v1
	v_mul_f32_e32 v28, 0x3f5ff5aa, v10
	v_mul_f32_e32 v29, 0x3f5ff5aa, v11
	v_fmac_f32_e32 v22, 0xbf955555, v23
	v_fma_f32 v18, v26, s4, -v18
	v_fma_f32 v19, v27, s4, -v19
	;; [unrolled: 1-line block ×3, first 2 shown]
	v_fmac_f32_e32 v4, 0x3d64c772, v6
	v_fma_f32 v6, v27, s3, -v5
	v_fmac_f32_e32 v5, 0x3d64c772, v7
	v_fma_f32 v7, v10, s2, -v24
	v_fma_f32 v10, v11, s2, -v25
	v_fmac_f32_e32 v25, 0xbeae86e6, v179
	v_fmac_f32_e32 v24, 0xbeae86e6, v178
	;; [unrolled: 1-line block ×4, first 2 shown]
	v_add_f32_e32 v4, v4, v176
	v_add_f32_e32 v11, v18, v176
	;; [unrolled: 1-line block ×3, first 2 shown]
	v_fmac_f32_e32 v25, 0xbee1c552, v1
	v_fmac_f32_e32 v7, 0xbee1c552, v0
	v_add_f32_e32 v5, v5, v22
	v_add_f32_e32 v19, v23, v176
	;; [unrolled: 1-line block ×3, first 2 shown]
	v_fmac_f32_e32 v24, 0xbee1c552, v0
	v_fmac_f32_e32 v10, 0xbee1c552, v1
	;; [unrolled: 1-line block ×4, first 2 shown]
	v_add_f32_e32 v176, v4, v25
	v_add_f32_e32 v179, v7, v18
	v_sub_f32_e32 v185, v18, v7
	v_sub_f32_e32 v18, v4, v25
	v_add_f32_e32 v0, v8, v2
	v_add_f32_e32 v4, v12, v182
	v_sub_f32_e32 v177, v5, v24
	v_add_f32_e32 v217, v29, v19
	v_sub_f32_e32 v218, v6, v28
	v_sub_f32_e32 v178, v11, v10
	v_add_f32_e32 v184, v10, v11
	v_sub_f32_e32 v180, v19, v29
	v_add_f32_e32 v181, v28, v6
	v_add_f32_e32 v19, v24, v5
	;; [unrolled: 1-line block ×3, first 2 shown]
	v_sub_f32_e32 v2, v8, v2
	v_add_f32_e32 v5, v13, v183
	v_sub_f32_e32 v6, v12, v182
	v_add_f32_e32 v8, v16, v186
	v_sub_f32_e32 v10, v186, v16
	v_add_f32_e32 v12, v4, v0
	v_sub_f32_e32 v3, v9, v3
	v_sub_f32_e32 v7, v13, v183
	v_add_f32_e32 v9, v17, v187
	v_sub_f32_e32 v11, v187, v17
	v_add_f32_e32 v13, v5, v1
	v_sub_f32_e32 v16, v4, v0
	v_sub_f32_e32 v22, v0, v8
	;; [unrolled: 1-line block ×3, first 2 shown]
	v_add_f32_e32 v0, v10, v6
	v_add_f32_e32 v8, v8, v12
	ds_read2_b64 v[172:175], v229 offset0:40 offset1:236
	v_sub_f32_e32 v17, v5, v1
	v_sub_f32_e32 v23, v1, v9
	;; [unrolled: 1-line block ×3, first 2 shown]
	v_add_f32_e32 v1, v11, v7
	v_sub_f32_e32 v24, v10, v6
	v_sub_f32_e32 v10, v2, v10
	;; [unrolled: 1-line block ×3, first 2 shown]
	v_add_f32_e32 v9, v9, v13
	v_add_f32_e32 v2, v0, v2
	;; [unrolled: 1-line block ×3, first 2 shown]
	v_sub_f32_e32 v25, v11, v7
	v_sub_f32_e32 v11, v3, v11
	;; [unrolled: 1-line block ×3, first 2 shown]
	v_add_f32_e32 v3, v1, v3
	v_add_f32_e32 v1, v21, v9
	v_mov_b32_e32 v26, v0
	v_mul_f32_e32 v12, 0x3f4a47b2, v22
	v_mul_f32_e32 v13, 0x3f4a47b2, v23
	;; [unrolled: 1-line block ×7, first 2 shown]
	v_fmac_f32_e32 v26, 0xbf955555, v8
	v_mov_b32_e32 v8, v1
	v_mul_f32_e32 v24, 0x3f5ff5aa, v6
	v_fmac_f32_e32 v8, 0xbf955555, v9
	v_fma_f32 v9, v16, s4, -v20
	v_fma_f32 v20, v17, s4, -v21
	;; [unrolled: 1-line block ×3, first 2 shown]
	v_fmac_f32_e32 v12, 0x3d64c772, v4
	v_fma_f32 v4, v17, s3, -v13
	v_fmac_f32_e32 v13, 0x3d64c772, v5
	v_fma_f32 v17, v6, s2, -v22
	;; [unrolled: 2-line block ×3, first 2 shown]
	v_fmac_f32_e32 v25, 0x3eae86e6, v11
	v_fmac_f32_e32 v23, 0xbeae86e6, v11
	;; [unrolled: 1-line block ×3, first 2 shown]
	v_add_f32_e32 v28, v13, v8
	v_add_f32_e32 v10, v9, v26
	;; [unrolled: 1-line block ×3, first 2 shown]
	v_fmac_f32_e32 v22, 0xbee1c552, v2
	v_fmac_f32_e32 v21, 0xbee1c552, v3
	;; [unrolled: 1-line block ×3, first 2 shown]
	v_add_f32_e32 v27, v12, v26
	v_add_f32_e32 v11, v20, v8
	v_add_f32_e32 v20, v4, v8
	v_fmac_f32_e32 v23, 0xbee1c552, v3
	v_fmac_f32_e32 v17, 0xbee1c552, v2
	v_sub_f32_e32 v5, v28, v22
	v_add_f32_e32 v8, v25, v16
	v_sub_f32_e32 v6, v10, v21
	v_add_f32_e32 v12, v21, v10
	;; [unrolled: 2-line block ×3, first 2 shown]
	s_waitcnt lgkmcnt(0)
	v_add_f32_e32 v16, v168, v172
	v_add_f32_e32 v22, v160, v164
	v_fmac_f32_e32 v24, 0xbee1c552, v2
	v_add_f32_e32 v4, v27, v23
	v_add_f32_e32 v7, v17, v11
	v_sub_f32_e32 v13, v11, v17
	v_sub_f32_e32 v2, v27, v23
	v_add_f32_e32 v17, v169, v173
	v_add_f32_e32 v23, v161, v165
	;; [unrolled: 1-line block ×3, first 2 shown]
	v_sub_f32_e32 v28, v156, v152
	v_add_f32_e32 v152, v22, v16
	v_add_f32_e32 v27, v153, v157
	v_sub_f32_e32 v29, v157, v153
	v_add_f32_e32 v153, v23, v17
	v_sub_f32_e32 v156, v22, v16
	v_sub_f32_e32 v16, v16, v26
	;; [unrolled: 1-line block ×3, first 2 shown]
	v_add_f32_e32 v26, v26, v152
	v_sub_f32_e32 v9, v20, v24
	v_add_f32_e32 v11, v24, v20
	v_sub_f32_e32 v20, v168, v172
	v_sub_f32_e32 v24, v160, v164
	;; [unrolled: 1-line block ×6, first 2 shown]
	v_add_f32_e32 v27, v27, v153
	v_add_f32_e32 v168, v148, v26
	v_sub_f32_e32 v21, v169, v173
	v_add_f32_e32 v160, v28, v24
	v_sub_f32_e32 v164, v28, v24
	v_sub_f32_e32 v165, v29, v25
	;; [unrolled: 1-line block ×3, first 2 shown]
	v_add_f32_e32 v169, v149, v27
	v_mov_b32_e32 v152, v168
	v_add_f32_e32 v161, v29, v25
	v_sub_f32_e32 v28, v20, v28
	v_sub_f32_e32 v29, v21, v29
	;; [unrolled: 1-line block ×3, first 2 shown]
	v_mul_f32_e32 v16, 0x3f4a47b2, v16
	v_mul_f32_e32 v17, 0x3f4a47b2, v17
	;; [unrolled: 1-line block ×7, first 2 shown]
	v_fmac_f32_e32 v152, 0xbf955555, v26
	v_mov_b32_e32 v26, v169
	v_add_f32_e32 v20, v160, v20
	v_add_f32_e32 v21, v161, v21
	v_mul_f32_e32 v187, 0x3f5ff5aa, v25
	v_fmac_f32_e32 v26, 0xbf955555, v27
	v_fma_f32 v27, v156, s4, -v148
	v_fma_f32 v148, v157, s4, -v149
	;; [unrolled: 1-line block ×3, first 2 shown]
	v_fmac_f32_e32 v16, 0x3d64c772, v22
	v_fma_f32 v22, v157, s3, -v17
	v_fmac_f32_e32 v17, 0x3d64c772, v23
	v_fma_f32 v23, v24, s2, -v182
	v_fma_f32 v24, v25, s2, -v183
	v_fmac_f32_e32 v183, 0xbeae86e6, v29
	v_fmac_f32_e32 v186, 0x3eae86e6, v28
	;; [unrolled: 1-line block ×4, first 2 shown]
	v_add_f32_e32 v16, v16, v152
	v_add_f32_e32 v22, v22, v26
	v_fmac_f32_e32 v183, 0xbee1c552, v21
	v_fmac_f32_e32 v186, 0xbee1c552, v20
	v_add_f32_e32 v17, v17, v26
	v_add_f32_e32 v25, v27, v152
	;; [unrolled: 1-line block ×4, first 2 shown]
	v_fmac_f32_e32 v182, 0xbee1c552, v20
	v_fmac_f32_e32 v23, 0xbee1c552, v20
	;; [unrolled: 1-line block ×3, first 2 shown]
	v_add_f32_e32 v172, v16, v183
	v_sub_f32_e32 v161, v22, v186
	v_add_f32_e32 v157, v186, v22
	v_sub_f32_e32 v148, v16, v183
	v_add_f32_e32 v16, v170, v174
	v_add_f32_e32 v22, v162, v166
	v_sub_f32_e32 v173, v17, v182
	v_add_f32_e32 v160, v187, v28
	v_add_f32_e32 v165, v23, v27
	v_sub_f32_e32 v153, v27, v23
	v_sub_f32_e32 v156, v28, v187
	v_add_f32_e32 v149, v182, v17
	v_add_f32_e32 v17, v171, v175
	;; [unrolled: 1-line block ×4, first 2 shown]
	v_sub_f32_e32 v28, v158, v154
	v_add_f32_e32 v154, v22, v16
	v_fmac_f32_e32 v24, 0xbee1c552, v21
	v_add_f32_e32 v27, v155, v159
	v_sub_f32_e32 v29, v159, v155
	v_add_f32_e32 v155, v23, v17
	v_sub_f32_e32 v158, v22, v16
	v_sub_f32_e32 v16, v16, v26
	;; [unrolled: 1-line block ×3, first 2 shown]
	v_add_f32_e32 v26, v26, v154
	v_sub_f32_e32 v164, v25, v24
	v_add_f32_e32 v152, v24, v25
	v_sub_f32_e32 v20, v170, v174
	v_sub_f32_e32 v24, v162, v166
	;; [unrolled: 1-line block ×6, first 2 shown]
	v_add_f32_e32 v27, v27, v155
	v_add_f32_e32 v170, v150, v26
	v_sub_f32_e32 v21, v171, v175
	v_sub_f32_e32 v166, v28, v24
	;; [unrolled: 1-line block ×3, first 2 shown]
	v_add_f32_e32 v171, v151, v27
	v_mov_b32_e32 v154, v170
	v_add_f32_e32 v162, v28, v24
	v_add_f32_e32 v163, v29, v25
	v_sub_f32_e32 v29, v21, v29
	v_sub_f32_e32 v24, v24, v20
	;; [unrolled: 1-line block ×3, first 2 shown]
	v_mul_f32_e32 v16, 0x3f4a47b2, v16
	v_mul_f32_e32 v17, 0x3f4a47b2, v17
	;; [unrolled: 1-line block ×6, first 2 shown]
	v_fmac_f32_e32 v154, 0xbf955555, v26
	v_mov_b32_e32 v26, v171
	v_add_f32_e32 v21, v163, v21
	v_mul_f32_e32 v186, 0x3f5ff5aa, v24
	v_fmac_f32_e32 v26, 0xbf955555, v27
	v_fma_f32 v27, v158, s4, -v150
	v_fma_f32 v150, v159, s4, -v151
	;; [unrolled: 1-line block ×3, first 2 shown]
	v_fmac_f32_e32 v16, 0x3d64c772, v22
	v_fma_f32 v22, v159, s3, -v17
	v_fmac_f32_e32 v17, 0x3d64c772, v23
	v_fma_f32 v23, v24, s2, -v182
	v_fma_f32 v24, v25, s2, -v183
	v_fmac_f32_e32 v183, 0xbeae86e6, v29
	v_add_f32_e32 v16, v16, v154
	v_fmac_f32_e32 v183, 0xbee1c552, v21
	v_mul_f32_e32 v187, 0x3f5ff5aa, v25
	v_add_f32_e32 v25, v27, v154
	v_add_f32_e32 v27, v150, v26
	v_add_f32_e32 v174, v16, v183
	v_sub_f32_e32 v150, v16, v183
	s_barrier
	buffer_load_dword v16, off, s[24:27], 0 offset:256 ; 4-byte Folded Reload
	s_waitcnt vmcnt(0)
	ds_write2_b64 v16, v[14:15], v[176:177] offset1:1
	ds_write2_b64 v16, v[217:218], v[178:179] offset0:2 offset1:3
	ds_write2_b64 v16, v[184:185], v[180:181] offset0:4 offset1:5
	ds_write_b64 v16, v[18:19] offset:48
	buffer_load_dword v14, off, s[24:27], 0 offset:252 ; 4-byte Folded Reload
	s_waitcnt vmcnt(0)
	ds_write2_b64 v14, v[0:1], v[4:5] offset1:1
	ds_write2_b64 v14, v[8:9], v[6:7] offset0:2 offset1:3
	ds_write2_b64 v14, v[12:13], v[10:11] offset0:4 offset1:5
	ds_write_b64 v14, v[2:3] offset:48
	;; [unrolled: 6-line block ×3, first 2 shown]
	buffer_load_dword v0, off, s[24:27], 0 offset:244 ; 4-byte Folded Reload
	v_sub_f32_e32 v28, v20, v28
	v_add_f32_e32 v20, v162, v20
	v_fmac_f32_e32 v182, 0xbeae86e6, v28
	v_fmac_f32_e32 v186, 0x3eae86e6, v28
	;; [unrolled: 1-line block ×3, first 2 shown]
	v_add_f32_e32 v17, v17, v26
	v_fmac_f32_e32 v182, 0xbee1c552, v20
	v_fmac_f32_e32 v23, 0xbee1c552, v20
	v_fmac_f32_e32 v24, 0xbee1c552, v21
	v_add_f32_e32 v28, v151, v154
	v_add_f32_e32 v22, v22, v26
	v_fmac_f32_e32 v186, 0xbee1c552, v20
	v_fmac_f32_e32 v187, 0xbee1c552, v21
	v_sub_f32_e32 v175, v17, v182
	v_add_f32_e32 v154, v24, v25
	v_sub_f32_e32 v155, v27, v23
	v_add_f32_e32 v151, v182, v17
	v_add_f32_e32 v162, v187, v28
	v_sub_f32_e32 v163, v22, v186
	v_sub_f32_e32 v166, v25, v24
	v_add_f32_e32 v167, v23, v27
	v_sub_f32_e32 v158, v28, v187
	v_add_f32_e32 v159, v186, v22
	s_waitcnt vmcnt(0)
	ds_write2_b64 v0, v[170:171], v[174:175] offset1:1
	ds_write2_b64 v0, v[162:163], v[166:167] offset0:2 offset1:3
	ds_write2_b64 v0, v[154:155], v[158:159] offset0:4 offset1:5
	ds_write_b64 v0, v[150:151] offset:48
	s_waitcnt lgkmcnt(0)
	s_barrier
	ds_read2_b64 v[0:3], v211 offset1:196
	ds_read2_b64 v[148:151], v31 offset0:24 offset1:220
	ds_read2_b64 v[4:7], v30 offset0:56 offset1:252
	;; [unrolled: 1-line block ×3, first 2 shown]
	v_mov_b32_e32 v185, v33
	ds_read2_b64 v[12:15], v33 offset0:32 offset1:228
	v_mov_b32_e32 v33, v32
	ds_read2_b64 v[16:19], v32 offset0:24 offset1:220
	ds_read2_b64 v[152:155], v212 offset0:8 offset1:204
	v_add_u32_e32 v184, 0x6200, v211
	v_add_u32_e32 v187, 0x1800, v211
	;; [unrolled: 1-line block ×3, first 2 shown]
	ds_read2_b64 v[156:159], v184 offset1:196
	ds_read2_b64 v[160:163], v228 offset0:40 offset1:236
	ds_read2_b64 v[164:167], v35 offset0:32 offset1:228
	;; [unrolled: 1-line block ×6, first 2 shown]
	buffer_load_dword v23, off, s[24:27], 0 offset:332 ; 4-byte Folded Reload
	buffer_load_dword v24, off, s[24:27], 0 offset:336 ; 4-byte Folded Reload
	s_waitcnt lgkmcnt(11)
	v_mul_f32_e32 v22, v51, v5
	v_fmac_f32_e32 v22, v50, v4
	v_mul_f32_e32 v4, v51, v4
	v_fma_f32 v4, v50, v5, -v4
	s_waitcnt lgkmcnt(8)
	v_mul_f32_e32 v28, v231, v19
	v_fmac_f32_e32 v28, v230, v18
	s_waitcnt lgkmcnt(6)
	v_mul_f32_e32 v26, v55, v157
	v_fmac_f32_e32 v26, v54, v156
	v_mul_f32_e32 v51, v59, v159
	v_mul_f32_e32 v21, v49, v150
	;; [unrolled: 1-line block ×3, first 2 shown]
	v_fma_f32 v21, v48, v151, -v21
	v_fmac_f32_e32 v20, v48, v150
	s_waitcnt lgkmcnt(5)
	v_mul_f32_e32 v29, v57, v161
	v_fmac_f32_e32 v51, v58, v158
	v_fmac_f32_e32 v29, v56, v160
	s_waitcnt lgkmcnt(1)
	v_mul_f32_e32 v150, v73, v179
	v_fmac_f32_e32 v150, v72, v178
	s_waitcnt vmcnt(0) lgkmcnt(0)
	s_barrier
	v_mov_b32_e32 v217, v30
	v_mov_b32_e32 v30, v32
	v_mul_f32_e32 v5, v24, v11
	v_fmac_f32_e32 v5, v23, v10
	v_mul_f32_e32 v10, v24, v10
	v_fma_f32 v10, v23, v11, -v10
	v_mul_f32_e32 v11, v61, v13
	v_fmac_f32_e32 v11, v60, v12
	v_mul_f32_e32 v12, v61, v12
	v_fma_f32 v12, v60, v13, -v12
	;; [unrolled: 4-line block ×3, first 2 shown]
	v_mul_f32_e32 v24, v233, v17
	v_mul_f32_e32 v6, v233, v16
	v_fmac_f32_e32 v24, v232, v16
	v_fma_f32 v16, v232, v17, -v6
	v_mul_f32_e32 v6, v53, v14
	v_fma_f32 v25, v52, v15, -v6
	v_mul_f32_e32 v6, v55, v156
	;; [unrolled: 2-line block ×4, first 2 shown]
	v_mul_f32_e32 v17, v53, v15
	v_fma_f32 v50, v56, v161, -v6
	v_mul_f32_e32 v6, v59, v158
	v_fmac_f32_e32 v17, v52, v14
	v_fma_f32 v52, v58, v159, -v6
	v_mul_f32_e32 v6, v241, v164
	v_fma_f32 v54, v240, v165, -v6
	v_mul_f32_e32 v6, v65, v162
	;; [unrolled: 2-line block ×5, first 2 shown]
	v_mul_f32_e32 v60, v67, v173
	v_fma_f32 v67, v68, v177, -v6
	v_mul_f32_e32 v6, v71, v174
	v_fmac_f32_e32 v60, v66, v172
	v_mul_f32_e32 v66, v69, v177
	v_fma_f32 v69, v70, v175, -v6
	v_mul_f32_e32 v6, v245, v180
	v_fmac_f32_e32 v66, v68, v176
	v_mul_f32_e32 v68, v71, v175
	v_fma_f32 v71, v244, v181, -v6
	v_mul_f32_e32 v6, v73, v178
	v_fma_f32 v151, v72, v179, -v6
	v_mul_f32_e32 v156, v75, v9
	v_mul_f32_e32 v6, v75, v8
	v_fmac_f32_e32 v156, v74, v8
	v_fma_f32 v74, v74, v9, -v6
	v_mul_f32_e32 v6, v247, v182
	v_sub_f32_e32 v9, v1, v4
	v_sub_f32_e32 v10, v21, v10
	;; [unrolled: 1-line block ×4, first 2 shown]
	v_fma_f32 v157, v246, v183, -v6
	v_fma_f32 v6, v1, 2.0, -v9
	v_fma_f32 v1, v21, 2.0, -v10
	v_sub_f32_e32 v14, v2, v13
	v_fma_f32 v13, v3, 2.0, -v15
	v_fma_f32 v3, v12, 2.0, -v16
	v_sub_f32_e32 v8, v0, v22
	v_sub_f32_e32 v7, v20, v5
	;; [unrolled: 1-line block ×9, first 2 shown]
	v_fma_f32 v4, v0, 2.0, -v8
	v_fma_f32 v0, v20, 2.0, -v7
	;; [unrolled: 1-line block ×3, first 2 shown]
	v_add_f32_e32 v6, v8, v10
	v_fma_f32 v10, v2, 2.0, -v14
	v_fma_f32 v2, v11, 2.0, -v19
	;; [unrolled: 1-line block ×3, first 2 shown]
	v_add_f32_e32 v12, v14, v16
	v_sub_f32_e32 v13, v15, v19
	v_fma_f32 v19, v152, 2.0, -v22
	v_fma_f32 v20, v153, 2.0, -v23
	;; [unrolled: 1-line block ×4, first 2 shown]
	v_sub_f32_e32 v16, v19, v16
	v_sub_f32_e32 v17, v20, v17
	v_mul_f32_e32 v53, v241, v165
	v_fma_f32 v18, v19, 2.0, -v16
	v_fma_f32 v19, v20, 2.0, -v17
	v_add_f32_e32 v20, v22, v24
	v_fmac_f32_e32 v53, v240, v164
	v_sub_f32_e32 v21, v23, v21
	v_fma_f32 v48, v22, 2.0, -v20
	v_sub_f32_e32 v22, v154, v51
	v_sub_f32_e32 v27, v50, v54
	v_mul_f32_e32 v58, v65, v163
	v_mul_f32_e32 v62, v243, v167
	v_fma_f32 v49, v23, 2.0, -v21
	v_sub_f32_e32 v23, v155, v52
	v_sub_f32_e32 v26, v29, v53
	v_add_f32_e32 v54, v22, v27
	v_fmac_f32_e32 v58, v64, v162
	v_fmac_f32_e32 v62, v242, v166
	v_fma_f32 v24, v154, 2.0, -v22
	v_fma_f32 v28, v29, 2.0, -v26
	;; [unrolled: 1-line block ×3, first 2 shown]
	v_sub_f32_e32 v55, v23, v26
	v_fma_f32 v56, v22, 2.0, -v54
	v_sub_f32_e32 v22, v168, v60
	v_sub_f32_e32 v27, v59, v63
	v_fmac_f32_e32 v68, v70, v174
	v_mul_f32_e32 v70, v245, v181
	v_fma_f32 v25, v155, 2.0, -v23
	v_sub_f32_e32 v50, v24, v28
	v_fma_f32 v57, v23, 2.0, -v55
	v_sub_f32_e32 v23, v169, v61
	v_sub_f32_e32 v26, v58, v62
	v_add_f32_e32 v62, v22, v27
	v_fmac_f32_e32 v70, v244, v180
	v_mul_f32_e32 v75, v247, v183
	v_sub_f32_e32 v51, v25, v29
	v_fma_f32 v52, v24, 2.0, -v50
	v_fma_f32 v24, v168, 2.0, -v22
	;; [unrolled: 1-line block ×4, first 2 shown]
	v_sub_f32_e32 v63, v23, v26
	v_fma_f32 v64, v22, 2.0, -v62
	v_sub_f32_e32 v22, v170, v68
	v_sub_f32_e32 v27, v67, v71
	v_fmac_f32_e32 v75, v246, v182
	v_fma_f32 v53, v25, 2.0, -v51
	v_fma_f32 v25, v169, 2.0, -v23
	v_sub_f32_e32 v58, v24, v28
	v_fma_f32 v65, v23, 2.0, -v63
	v_sub_f32_e32 v23, v171, v69
	v_sub_f32_e32 v26, v66, v70
	v_add_f32_e32 v70, v22, v27
	v_sub_f32_e32 v59, v25, v29
	v_fma_f32 v60, v24, 2.0, -v58
	v_fma_f32 v24, v170, 2.0, -v22
	;; [unrolled: 1-line block ×4, first 2 shown]
	v_sub_f32_e32 v71, v23, v26
	v_fma_f32 v72, v22, 2.0, -v70
	v_sub_f32_e32 v22, v148, v156
	v_sub_f32_e32 v26, v150, v75
	;; [unrolled: 1-line block ×4, first 2 shown]
	v_fma_f32 v28, v150, 2.0, -v26
	v_add_f32_e32 v150, v22, v27
	v_fma_f32 v68, v24, 2.0, -v66
	v_fma_f32 v24, v148, 2.0, -v22
	;; [unrolled: 1-line block ×3, first 2 shown]
	buffer_load_dword v22, off, s[24:27], 0 offset:240 ; 4-byte Folded Reload
	v_sub_f32_e32 v0, v4, v0
	v_sub_f32_e32 v7, v9, v7
	v_fma_f32 v4, v4, 2.0, -v0
	v_fma_f32 v8, v8, 2.0, -v6
	;; [unrolled: 1-line block ×3, first 2 shown]
	s_waitcnt vmcnt(0)
	ds_write2_b64 v22, v[4:5], v[8:9] offset1:7
	ds_write2_b64 v22, v[0:1], v[6:7] offset0:14 offset1:21
	buffer_load_dword v0, off, s[24:27], 0 offset:236 ; 4-byte Folded Reload
	v_sub_f32_e32 v2, v10, v2
	v_fma_f32 v10, v10, 2.0, -v2
	v_fma_f32 v14, v14, 2.0, -v12
	;; [unrolled: 1-line block ×3, first 2 shown]
	s_waitcnt vmcnt(0)
	ds_write2_b64 v0, v[10:11], v[14:15] offset1:7
	ds_write2_b64 v0, v[2:3], v[12:13] offset0:14 offset1:21
	buffer_load_dword v0, off, s[24:27], 0 offset:232 ; 4-byte Folded Reload
	s_waitcnt vmcnt(0)
	ds_write2_b64 v0, v[18:19], v[48:49] offset1:7
	ds_write2_b64 v0, v[16:17], v[20:21] offset0:14 offset1:21
	buffer_load_dword v0, off, s[24:27], 0 offset:228 ; 4-byte Folded Reload
	;; [unrolled: 4-line block ×3, first 2 shown]
	v_fma_f32 v61, v25, 2.0, -v59
	s_waitcnt vmcnt(0)
	ds_write2_b64 v0, v[60:61], v[64:65] offset1:7
	ds_write2_b64 v0, v[58:59], v[62:63] offset0:14 offset1:21
	buffer_load_dword v0, off, s[24:27], 0 offset:216 ; 4-byte Folded Reload
	v_fma_f32 v25, v171, 2.0, -v23
	v_sub_f32_e32 v67, v25, v29
	v_fma_f32 v69, v25, 2.0, -v67
	v_fma_f32 v73, v23, 2.0, -v71
	s_waitcnt vmcnt(0)
	ds_write2_b64 v0, v[68:69], v[72:73] offset1:7
	ds_write2_b64 v0, v[66:67], v[70:71] offset0:14 offset1:21
	buffer_load_dword v0, off, s[24:27], 0 offset:220 ; 4-byte Folded Reload
	v_sub_f32_e32 v23, v149, v74
	v_fma_f32 v25, v149, 2.0, -v23
	v_fma_f32 v29, v151, 2.0, -v27
	v_sub_f32_e32 v74, v24, v28
	v_sub_f32_e32 v75, v25, v29
	;; [unrolled: 1-line block ×3, first 2 shown]
	v_fma_f32 v148, v24, 2.0, -v74
	v_fma_f32 v149, v25, 2.0, -v75
	;; [unrolled: 1-line block ×3, first 2 shown]
	s_waitcnt vmcnt(0)
	ds_write2_b64 v0, v[148:149], v[152:153] offset1:7
	ds_write2_b64 v0, v[74:75], v[150:151] offset0:14 offset1:21
	s_waitcnt lgkmcnt(0)
	s_barrier
	ds_read2_b64 v[0:3], v211 offset1:196
	ds_read2_b64 v[4:7], v187 offset0:16 offset1:212
	ds_read2_b64 v[8:11], v185 offset0:32 offset1:228
	;; [unrolled: 1-line block ×3, first 2 shown]
	ds_read2_b64 v[16:19], v184 offset1:196
	ds_read2_b64 v[52:55], v34 offset0:16 offset1:212
	ds_read2_b64 v[56:59], v35 offset0:32 offset1:228
	s_waitcnt lgkmcnt(5)
	v_mul_f32_e32 v20, v197, v5
	v_fmac_f32_e32 v20, v196, v4
	v_mul_f32_e32 v4, v197, v4
	v_fma_f32 v4, v196, v5, -v4
	s_waitcnt lgkmcnt(4)
	v_mul_f32_e32 v5, v199, v9
	v_fmac_f32_e32 v5, v198, v8
	v_mul_f32_e32 v8, v199, v8
	v_fma_f32 v8, v198, v9, -v8
	s_waitcnt lgkmcnt(3)
	v_mul_f32_e32 v9, v220, v13
	v_fmac_f32_e32 v9, v219, v12
	v_mul_f32_e32 v12, v220, v12
	v_mul_f32_e32 v24, v193, v7
	v_fma_f32 v12, v219, v13, -v12
	s_waitcnt lgkmcnt(2)
	v_mul_f32_e32 v13, v222, v17
	v_fmac_f32_e32 v24, v192, v6
	v_mul_f32_e32 v6, v193, v6
	v_fmac_f32_e32 v13, v221, v16
	v_mul_f32_e32 v16, v222, v16
	v_fma_f32 v25, v192, v7, -v6
	v_mul_f32_e32 v6, v195, v10
	v_fma_f32 v16, v221, v17, -v16
	s_waitcnt lgkmcnt(1)
	v_mul_f32_e32 v17, v251, v53
	v_fma_f32 v27, v194, v11, -v6
	v_mul_f32_e32 v6, v207, v14
	v_fmac_f32_e32 v17, v250, v52
	v_mul_f32_e32 v21, v251, v52
	v_fma_f32 v29, v206, v15, -v6
	v_mul_f32_e32 v52, v209, v19
	v_mul_f32_e32 v6, v209, v18
	v_fmac_f32_e32 v52, v208, v18
	v_fma_f32 v18, v208, v19, -v6
	v_mul_f32_e32 v6, v235, v54
	ds_read2_b64 v[48:51], v212 offset0:8 offset1:204
	ds_read2_b64 v[60:63], v31 offset0:24 offset1:220
	;; [unrolled: 1-line block ×6, first 2 shown]
	v_fma_f32 v21, v250, v53, -v21
	s_waitcnt lgkmcnt(6)
	v_mul_f32_e32 v22, v253, v57
	v_fma_f32 v53, v234, v55, -v6
	v_mul_f32_e32 v6, v237, v58
	ds_read2_b64 v[152:155], v229 offset0:40 offset1:236
	v_fmac_f32_e32 v22, v252, v56
	v_mul_f32_e32 v23, v253, v56
	v_mul_f32_e32 v19, v235, v55
	v_fma_f32 v55, v236, v59, -v6
	s_waitcnt lgkmcnt(5)
	v_mul_f32_e32 v56, v41, v61
	v_mul_f32_e32 v6, v41, v60
	v_fmac_f32_e32 v56, v40, v60
	v_fma_f32 v40, v40, v61, -v6
	s_waitcnt lgkmcnt(4)
	v_mul_f32_e32 v41, v43, v65
	v_mul_f32_e32 v6, v43, v64
	v_fmac_f32_e32 v41, v42, v64
	;; [unrolled: 5-line block ×4, first 2 shown]
	v_fma_f32 v38, v38, v73, -v6
	s_waitcnt lgkmcnt(1)
	v_mul_f32_e32 v6, v214, v148
	v_fma_f32 v23, v252, v57, -v23
	v_fma_f32 v57, v213, v149, -v6
	s_waitcnt lgkmcnt(0)
	v_mul_f32_e32 v6, v216, v152
	v_fmac_f32_e32 v19, v234, v54
	v_mul_f32_e32 v54, v237, v59
	v_fma_f32 v59, v215, v153, -v6
	v_mul_f32_e32 v6, v45, v62
	v_fma_f32 v61, v44, v63, -v6
	v_mul_f32_e32 v6, v47, v66
	v_mul_f32_e32 v60, v45, v63
	v_fma_f32 v63, v46, v67, -v6
	v_mul_f32_e32 v6, v189, v70
	v_fma_f32 v65, v188, v71, -v6
	v_mul_f32_e32 v6, v191, v74
	v_fmac_f32_e32 v60, v44, v62
	v_mul_f32_e32 v62, v47, v67
	v_fma_f32 v67, v190, v75, -v6
	v_mul_f32_e32 v6, v203, v150
	v_fma_f32 v69, v202, v151, -v6
	v_mul_f32_e32 v6, v205, v154
	v_mul_f32_e32 v26, v195, v11
	;; [unrolled: 1-line block ×4, first 2 shown]
	v_fma_f32 v71, v204, v155, -v6
	v_add_f32_e32 v6, v20, v22
	v_add_f32_e32 v11, v5, v17
	v_fmac_f32_e32 v28, v206, v14
	v_add_f32_e32 v7, v4, v23
	v_add_f32_e32 v14, v8, v21
	;; [unrolled: 1-line block ×3, first 2 shown]
	v_sub_f32_e32 v9, v13, v9
	v_add_f32_e32 v13, v11, v6
	v_sub_f32_e32 v5, v5, v17
	v_add_f32_e32 v17, v12, v16
	;; [unrolled: 2-line block ×3, first 2 shown]
	v_add_f32_e32 v13, v15, v13
	v_fmac_f32_e32 v26, v194, v10
	v_sub_f32_e32 v10, v20, v22
	v_sub_f32_e32 v4, v4, v23
	;; [unrolled: 1-line block ×6, first 2 shown]
	v_add_f32_e32 v15, v17, v16
	v_add_f32_e32 v0, v0, v13
	v_mov_b32_e32 v158, v34
	v_mov_b32_e32 v164, v33
	v_sub_f32_e32 v21, v14, v7
	v_sub_f32_e32 v7, v7, v17
	;; [unrolled: 1-line block ×3, first 2 shown]
	v_add_f32_e32 v22, v9, v5
	v_add_f32_e32 v23, v12, v8
	v_sub_f32_e32 v32, v9, v5
	v_sub_f32_e32 v33, v12, v8
	;; [unrolled: 1-line block ×3, first 2 shown]
	v_add_f32_e32 v1, v1, v15
	v_mov_b32_e32 v34, v0
	v_sub_f32_e32 v9, v10, v9
	v_sub_f32_e32 v12, v4, v12
	;; [unrolled: 1-line block ×3, first 2 shown]
	v_add_f32_e32 v10, v22, v10
	v_add_f32_e32 v4, v23, v4
	v_mul_f32_e32 v6, 0x3f4a47b2, v6
	v_mul_f32_e32 v7, 0x3f4a47b2, v7
	v_mul_f32_e32 v16, 0x3d64c772, v11
	v_mul_f32_e32 v17, 0x3d64c772, v14
	v_mul_f32_e32 v22, 0x3f08b237, v32
	v_mul_f32_e32 v23, 0x3f08b237, v33
	v_mul_f32_e32 v33, 0x3f5ff5aa, v8
	v_fmac_f32_e32 v34, 0xbf955555, v13
	v_mov_b32_e32 v13, v1
	v_mul_f32_e32 v32, 0x3f5ff5aa, v5
	v_fmac_f32_e32 v13, 0xbf955555, v15
	v_fma_f32 v15, v20, s4, -v16
	v_fma_f32 v16, v21, s4, -v17
	;; [unrolled: 1-line block ×3, first 2 shown]
	v_fmac_f32_e32 v6, 0x3d64c772, v11
	v_fma_f32 v11, v21, s3, -v7
	v_fmac_f32_e32 v7, 0x3d64c772, v14
	v_fma_f32 v14, v5, s2, -v22
	;; [unrolled: 2-line block ×3, first 2 shown]
	v_fmac_f32_e32 v33, 0x3eae86e6, v12
	v_mov_b32_e32 v160, v35
	v_fmac_f32_e32 v54, v236, v58
	v_fmac_f32_e32 v23, 0xbeae86e6, v12
	;; [unrolled: 1-line block ×3, first 2 shown]
	v_add_f32_e32 v35, v7, v13
	v_add_f32_e32 v12, v15, v34
	;; [unrolled: 1-line block ×4, first 2 shown]
	v_fmac_f32_e32 v22, 0xbee1c552, v10
	v_fmac_f32_e32 v14, 0xbee1c552, v10
	;; [unrolled: 1-line block ×4, first 2 shown]
	v_add_f32_e32 v21, v6, v34
	v_add_f32_e32 v13, v11, v13
	v_fmac_f32_e32 v23, 0xbee1c552, v4
	v_fmac_f32_e32 v32, 0xbee1c552, v10
	v_sub_f32_e32 v5, v35, v22
	v_add_f32_e32 v6, v33, v16
	v_sub_f32_e32 v8, v12, v20
	v_add_f32_e32 v9, v14, v15
	v_add_f32_e32 v10, v20, v12
	v_sub_f32_e32 v11, v15, v14
	v_sub_f32_e32 v12, v16, v33
	v_add_f32_e32 v15, v22, v35
	v_add_f32_e32 v16, v24, v54
	v_add_f32_e32 v22, v26, v19
	v_add_f32_e32 v4, v23, v21
	v_sub_f32_e32 v14, v21, v23
	v_add_f32_e32 v17, v25, v55
	v_sub_f32_e32 v20, v24, v54
	v_sub_f32_e32 v21, v25, v55
	v_add_f32_e32 v23, v27, v53
	v_sub_f32_e32 v24, v27, v53
	v_add_f32_e32 v25, v28, v52
	;; [unrolled: 2-line block ×6, first 2 shown]
	v_sub_f32_e32 v32, v22, v16
	v_sub_f32_e32 v16, v16, v25
	;; [unrolled: 1-line block ×3, first 2 shown]
	v_add_f32_e32 v25, v25, v28
	v_sub_f32_e32 v33, v23, v17
	v_sub_f32_e32 v17, v17, v26
	;; [unrolled: 1-line block ×3, first 2 shown]
	v_add_f32_e32 v26, v26, v29
	v_add_f32_e32 v2, v2, v25
	v_fmac_f32_e32 v62, v46, v66
	v_add_f32_e32 v34, v27, v19
	v_sub_f32_e32 v44, v27, v19
	v_sub_f32_e32 v19, v19, v20
	v_add_f32_e32 v3, v3, v26
	v_mov_b32_e32 v46, v2
	v_add_f32_e32 v35, v18, v24
	v_sub_f32_e32 v45, v18, v24
	v_sub_f32_e32 v27, v20, v27
	;; [unrolled: 1-line block ×3, first 2 shown]
	v_add_f32_e32 v20, v34, v20
	v_mul_f32_e32 v16, 0x3f4a47b2, v16
	v_mul_f32_e32 v17, 0x3f4a47b2, v17
	;; [unrolled: 1-line block ×6, first 2 shown]
	v_fmac_f32_e32 v46, 0xbf955555, v25
	v_mov_b32_e32 v25, v3
	v_mul_f32_e32 v39, v214, v149
	v_mul_f32_e32 v58, v216, v153
	v_sub_f32_e32 v18, v21, v18
	v_add_f32_e32 v21, v35, v21
	v_mul_f32_e32 v35, 0x3f08b237, v45
	v_mul_f32_e32 v45, 0x3f5ff5aa, v24
	v_fmac_f32_e32 v25, 0xbf955555, v26
	v_fma_f32 v26, v32, s4, -v28
	v_fma_f32 v28, v33, s4, -v29
	;; [unrolled: 1-line block ×3, first 2 shown]
	v_fmac_f32_e32 v16, 0x3d64c772, v22
	v_fma_f32 v22, v33, s3, -v17
	v_fmac_f32_e32 v17, 0x3d64c772, v23
	v_fma_f32 v23, v19, s2, -v34
	v_fmac_f32_e32 v34, 0xbeae86e6, v27
	v_fmac_f32_e32 v44, 0x3eae86e6, v27
	;; [unrolled: 1-line block ×4, first 2 shown]
	v_fma_f32 v24, v24, s2, -v35
	v_fmac_f32_e32 v35, 0xbeae86e6, v18
	v_fmac_f32_e32 v45, 0x3eae86e6, v18
	v_add_f32_e32 v33, v17, v25
	v_add_f32_e32 v27, v28, v25
	v_add_f32_e32 v22, v22, v25
	v_fmac_f32_e32 v34, 0xbee1c552, v20
	v_fmac_f32_e32 v23, 0xbee1c552, v20
	;; [unrolled: 1-line block ×3, first 2 shown]
	v_add_f32_e32 v32, v16, v46
	v_fmac_f32_e32 v35, 0xbee1c552, v21
	v_fmac_f32_e32 v24, 0xbee1c552, v21
	;; [unrolled: 1-line block ×3, first 2 shown]
	v_sub_f32_e32 v17, v33, v34
	v_sub_f32_e32 v19, v22, v44
	v_add_f32_e32 v21, v23, v27
	v_sub_f32_e32 v25, v27, v23
	v_add_f32_e32 v27, v44, v22
	v_add_f32_e32 v33, v34, v33
	;; [unrolled: 1-line block ×7, first 2 shown]
	v_sub_f32_e32 v32, v32, v35
	v_add_f32_e32 v23, v40, v59
	v_sub_f32_e32 v29, v40, v59
	v_add_f32_e32 v35, v42, v57
	v_sub_f32_e32 v39, v41, v39
	v_sub_f32_e32 v40, v42, v57
	v_add_f32_e32 v41, v43, v37
	v_add_f32_e32 v42, v36, v38
	v_sub_f32_e32 v37, v37, v43
	v_sub_f32_e32 v36, v38, v36
	v_add_f32_e32 v38, v34, v22
	v_add_f32_e32 v18, v45, v28
	v_sub_f32_e32 v20, v26, v24
	v_add_f32_e32 v24, v24, v26
	v_sub_f32_e32 v26, v28, v45
	v_sub_f32_e32 v28, v56, v58
	v_add_f32_e32 v43, v35, v23
	v_sub_f32_e32 v44, v34, v22
	v_sub_f32_e32 v46, v41, v34
	v_add_f32_e32 v34, v37, v39
	v_add_f32_e32 v38, v41, v38
	v_sub_f32_e32 v45, v35, v23
	v_sub_f32_e32 v22, v22, v41
	;; [unrolled: 1-line block ×3, first 2 shown]
	v_add_f32_e32 v35, v36, v40
	v_sub_f32_e32 v52, v37, v39
	v_sub_f32_e32 v37, v28, v37
	;; [unrolled: 1-line block ×3, first 2 shown]
	v_add_f32_e32 v41, v42, v43
	v_add_f32_e32 v28, v34, v28
	;; [unrolled: 1-line block ×3, first 2 shown]
	v_sub_f32_e32 v23, v23, v42
	v_sub_f32_e32 v53, v36, v40
	;; [unrolled: 1-line block ×4, first 2 shown]
	v_add_f32_e32 v29, v35, v29
	v_add_f32_e32 v35, v49, v41
	v_mov_b32_e32 v54, v34
	v_mul_f32_e32 v22, 0x3f4a47b2, v22
	v_mul_f32_e32 v23, 0x3f4a47b2, v23
	;; [unrolled: 1-line block ×6, first 2 shown]
	v_fmac_f32_e32 v54, 0xbf955555, v38
	v_mov_b32_e32 v38, v35
	v_fmac_f32_e32 v64, v188, v70
	v_mul_f32_e32 v68, v203, v151
	v_mul_f32_e32 v70, v205, v155
	;; [unrolled: 1-line block ×4, first 2 shown]
	v_fmac_f32_e32 v38, 0xbf955555, v41
	v_fma_f32 v41, v44, s4, -v42
	v_fma_f32 v42, v45, s4, -v43
	;; [unrolled: 1-line block ×3, first 2 shown]
	v_fmac_f32_e32 v22, 0x3d64c772, v46
	v_fma_f32 v44, v45, s3, -v23
	v_fmac_f32_e32 v23, 0x3d64c772, v47
	v_fma_f32 v45, v39, s2, -v48
	v_fmac_f32_e32 v48, 0xbeae86e6, v37
	v_fma_f32 v46, v40, s2, -v49
	v_fmac_f32_e32 v49, 0xbeae86e6, v36
	v_mul_f32_e32 v66, v191, v75
	v_fmac_f32_e32 v68, v202, v150
	v_fmac_f32_e32 v70, v204, v154
	;; [unrolled: 1-line block ×4, first 2 shown]
	v_add_f32_e32 v22, v22, v54
	v_add_f32_e32 v23, v23, v38
	;; [unrolled: 1-line block ×3, first 2 shown]
	v_fmac_f32_e32 v48, 0xbee1c552, v28
	v_fmac_f32_e32 v49, 0xbee1c552, v29
	v_fmac_f32_e32 v46, 0xbee1c552, v29
	v_fmac_f32_e32 v66, v190, v74
	v_add_f32_e32 v55, v42, v38
	v_add_f32_e32 v54, v43, v54
	;; [unrolled: 1-line block ×3, first 2 shown]
	v_fmac_f32_e32 v45, 0xbee1c552, v28
	v_fmac_f32_e32 v52, 0xbee1c552, v28
	;; [unrolled: 1-line block ×3, first 2 shown]
	v_add_f32_e32 v36, v49, v22
	v_sub_f32_e32 v37, v23, v48
	v_sub_f32_e32 v40, v47, v46
	v_add_f32_e32 v42, v46, v47
	v_sub_f32_e32 v46, v22, v49
	v_add_f32_e32 v47, v48, v23
	v_add_f32_e32 v22, v60, v70
	;; [unrolled: 1-line block ×4, first 2 shown]
	v_sub_f32_e32 v39, v56, v52
	v_add_f32_e32 v41, v45, v55
	v_sub_f32_e32 v43, v55, v45
	v_sub_f32_e32 v44, v54, v53
	v_add_f32_e32 v45, v52, v56
	v_add_f32_e32 v23, v61, v71
	v_add_f32_e32 v49, v63, v69
	v_sub_f32_e32 v52, v62, v68
	v_add_f32_e32 v54, v64, v66
	v_sub_f32_e32 v56, v66, v64
	v_add_f32_e32 v58, v48, v22
	v_sub_f32_e32 v28, v60, v70
	v_sub_f32_e32 v53, v63, v69
	v_add_f32_e32 v55, v65, v67
	v_sub_f32_e32 v57, v67, v65
	v_add_f32_e32 v59, v49, v23
	v_sub_f32_e32 v60, v48, v22
	v_sub_f32_e32 v22, v22, v54
	;; [unrolled: 1-line block ×3, first 2 shown]
	v_add_f32_e32 v48, v56, v52
	v_add_f32_e32 v54, v54, v58
	v_sub_f32_e32 v29, v61, v71
	v_sub_f32_e32 v61, v49, v23
	;; [unrolled: 1-line block ×4, first 2 shown]
	v_add_f32_e32 v49, v57, v53
	v_sub_f32_e32 v64, v56, v52
	v_sub_f32_e32 v56, v28, v56
	;; [unrolled: 1-line block ×3, first 2 shown]
	v_add_f32_e32 v55, v55, v59
	v_add_f32_e32 v28, v48, v28
	;; [unrolled: 1-line block ×3, first 2 shown]
	v_sub_f32_e32 v65, v57, v53
	v_sub_f32_e32 v57, v29, v57
	;; [unrolled: 1-line block ×3, first 2 shown]
	v_add_f32_e32 v29, v49, v29
	v_add_f32_e32 v49, v51, v55
	v_mov_b32_e32 v66, v48
	v_mul_f32_e32 v22, 0x3f4a47b2, v22
	v_mul_f32_e32 v23, 0x3f4a47b2, v23
	;; [unrolled: 1-line block ×5, first 2 shown]
	v_fmac_f32_e32 v66, 0xbf955555, v54
	v_mov_b32_e32 v54, v49
	v_fmac_f32_e32 v54, 0xbf955555, v55
	v_fma_f32 v50, v60, s4, -v50
	v_fma_f32 v55, v60, s3, -v22
	v_fmac_f32_e32 v22, 0x3d64c772, v62
	v_fma_f32 v60, v61, s3, -v23
	v_fma_f32 v62, v53, s2, -v65
	v_fmac_f32_e32 v65, 0xbeae86e6, v57
	v_fmac_f32_e32 v59, 0x3eae86e6, v56
	v_mul_f32_e32 v51, 0x3d64c772, v63
	v_mul_f32_e32 v64, 0x3f08b237, v64
	v_add_f32_e32 v22, v22, v66
	v_add_f32_e32 v60, v60, v54
	v_fmac_f32_e32 v65, 0xbee1c552, v29
	v_fmac_f32_e32 v59, 0xbee1c552, v28
	v_mul_f32_e32 v58, 0x3f5ff5aa, v53
	v_fma_f32 v51, v61, s4, -v51
	v_fma_f32 v61, v52, s2, -v64
	v_fmac_f32_e32 v64, 0xbeae86e6, v56
	v_add_f32_e32 v56, v50, v66
	v_add_f32_e32 v50, v65, v22
	v_sub_f32_e32 v53, v60, v59
	v_add_f32_e32 v59, v59, v60
	v_sub_f32_e32 v60, v22, v65
	s_barrier
	buffer_load_dword v22, off, s[24:27], 0 offset:260 ; 4-byte Folded Reload
	s_waitcnt vmcnt(0)
	ds_write2_b64 v22, v[0:1], v[4:5] offset1:28
	ds_write2_b64 v22, v[6:7], v[8:9] offset0:56 offset1:84
	ds_write2_b64 v22, v[10:11], v[12:13] offset0:112 offset1:140
	ds_write_b64 v22, v[14:15] offset:1344
	buffer_load_dword v0, off, s[24:27], 0 offset:264 ; 4-byte Folded Reload
	s_waitcnt vmcnt(0)
	ds_write2_b64 v0, v[2:3], v[16:17] offset1:28
	ds_write2_b64 v0, v[18:19], v[20:21] offset0:56 offset1:84
	ds_write2_b64 v0, v[24:25], v[26:27] offset0:112 offset1:140
	ds_write_b64 v0, v[32:33] offset:1344
	;; [unrolled: 6-line block ×3, first 2 shown]
	buffer_load_dword v0, off, s[24:27], 0 offset:272 ; 4-byte Folded Reload
	v_fmac_f32_e32 v23, 0x3d64c772, v63
	v_fmac_f32_e32 v58, 0x3eae86e6, v57
	v_add_f32_e32 v23, v23, v54
	v_add_f32_e32 v57, v51, v54
	;; [unrolled: 1-line block ×3, first 2 shown]
	v_fmac_f32_e32 v64, 0xbee1c552, v28
	v_fmac_f32_e32 v61, 0xbee1c552, v28
	;; [unrolled: 1-line block ×4, first 2 shown]
	v_sub_f32_e32 v51, v23, v64
	v_add_f32_e32 v52, v58, v63
	v_sub_f32_e32 v54, v56, v62
	v_add_f32_e32 v55, v61, v57
	v_add_f32_e32 v56, v62, v56
	v_sub_f32_e32 v57, v57, v61
	v_sub_f32_e32 v58, v63, v58
	v_add_f32_e32 v61, v64, v23
	s_waitcnt vmcnt(0)
	ds_write2_b64 v0, v[48:49], v[50:51] offset1:28
	ds_write2_b64 v0, v[52:53], v[54:55] offset0:56 offset1:84
	ds_write2_b64 v0, v[56:57], v[58:59] offset0:112 offset1:140
	ds_write_b64 v0, v[60:61] offset:1344
	s_waitcnt lgkmcnt(0)
	s_barrier
	ds_read2_b64 v[0:3], v211 offset1:196
	ds_read2_b64 v[4:7], v31 offset0:24 offset1:220
	ds_read2_b64 v[8:11], v217 offset0:56 offset1:252
	;; [unrolled: 1-line block ×6, first 2 shown]
	ds_read2_b64 v[36:39], v184 offset1:196
	ds_read2_b64 v[40:43], v228 offset0:40 offset1:236
	ds_read2_b64 v[44:47], v160 offset0:32 offset1:228
	;; [unrolled: 1-line block ×4, first 2 shown]
	s_waitcnt lgkmcnt(10)
	v_mul_f32_e32 v20, v77, v7
	v_fmac_f32_e32 v20, v76, v6
	v_mul_f32_e32 v6, v77, v6
	v_fma_f32 v6, v76, v7, -v6
	s_waitcnt lgkmcnt(9)
	v_mul_f32_e32 v7, v79, v9
	v_fmac_f32_e32 v7, v78, v8
	v_mul_f32_e32 v8, v79, v8
	v_fma_f32 v8, v78, v9, -v8
	;; [unrolled: 5-line block ×4, first 2 shown]
	v_mul_f32_e32 v17, v79, v11
	v_fmac_f32_e32 v17, v78, v10
	v_mul_f32_e32 v10, v79, v10
	v_fma_f32 v21, v78, v11, -v10
	s_waitcnt lgkmcnt(6)
	v_mul_f32_e32 v22, v249, v25
	v_mul_f32_e32 v10, v249, v24
	v_fmac_f32_e32 v22, v248, v24
	v_fma_f32 v23, v248, v25, -v10
	v_mul_f32_e32 v24, v81, v19
	v_mul_f32_e32 v10, v81, v18
	v_fmac_f32_e32 v24, v80, v18
	v_fma_f32 v18, v80, v19, -v10
	s_waitcnt lgkmcnt(4)
	v_mul_f32_e32 v10, v83, v36
	v_fma_f32 v25, v82, v37, -v10
	v_mul_f32_e32 v28, v225, v27
	v_mul_f32_e32 v10, v225, v26
	v_fmac_f32_e32 v28, v224, v26
	v_fma_f32 v26, v224, v27, -v10
	s_waitcnt lgkmcnt(3)
	v_mul_f32_e32 v10, v85, v40
	v_fma_f32 v29, v84, v41, -v10
	v_mul_f32_e32 v10, v87, v38
	ds_read2_b64 v[56:59], v30 offset0:48 offset1:244
	ds_read2_b64 v[60:63], v229 offset0:40 offset1:236
	v_mul_f32_e32 v19, v83, v37
	v_fma_f32 v37, v86, v39, -v10
	s_waitcnt lgkmcnt(4)
	v_mul_f32_e32 v10, v239, v44
	v_fmac_f32_e32 v19, v82, v36
	v_mul_f32_e32 v36, v87, v39
	v_fma_f32 v39, v238, v45, -v10
	v_mul_f32_e32 v10, v89, v42
	v_mul_f32_e32 v27, v85, v41
	v_fma_f32 v41, v88, v43, -v10
	s_waitcnt lgkmcnt(2)
	v_mul_f32_e32 v10, v91, v52
	v_fmac_f32_e32 v27, v84, v40
	v_mul_f32_e32 v40, v89, v43
	v_fma_f32 v43, v90, v53, -v10
	v_mul_f32_e32 v10, v255, v46
	v_fmac_f32_e32 v36, v86, v38
	v_mul_f32_e32 v38, v239, v45
	v_fma_f32 v45, v254, v47, -v10
	s_waitcnt lgkmcnt(1)
	v_mul_f32_e32 v10, v93, v56
	v_fmac_f32_e32 v38, v238, v44
	v_mul_f32_e32 v44, v255, v47
	v_fma_f32 v47, v92, v57, -v10
	v_mul_f32_e32 v10, v95, v54
	v_fmac_f32_e32 v40, v88, v42
	v_mul_f32_e32 v42, v91, v53
	v_fma_f32 v53, v94, v55, -v10
	s_waitcnt lgkmcnt(0)
	v_mul_f32_e32 v10, v227, v60
	v_mov_b32_e32 v65, v30
	v_fma_f32 v30, v226, v61, -v10
	v_mul_f32_e32 v10, v97, v58
	v_fmac_f32_e32 v42, v90, v52
	v_fmac_f32_e32 v44, v254, v46
	v_mul_f32_e32 v46, v93, v57
	v_mul_f32_e32 v52, v95, v55
	v_fma_f32 v55, v96, v59, -v10
	v_mul_f32_e32 v10, v99, v12
	v_fmac_f32_e32 v46, v92, v56
	v_mul_f32_e32 v56, v99, v13
	v_fma_f32 v57, v98, v13, -v10
	v_mul_f32_e32 v10, v201, v62
	v_mov_b32_e32 v73, v31
	v_mul_f32_e32 v31, v97, v59
	v_fmac_f32_e32 v56, v98, v12
	v_fma_f32 v59, v200, v63, -v10
	v_sub_f32_e32 v10, v0, v7
	v_sub_f32_e32 v11, v1, v8
	;; [unrolled: 1-line block ×4, first 2 shown]
	v_fma_f32 v7, v0, 2.0, -v10
	v_fma_f32 v8, v1, 2.0, -v11
	;; [unrolled: 1-line block ×4, first 2 shown]
	v_sub_f32_e32 v0, v7, v0
	v_sub_f32_e32 v1, v8, v1
	;; [unrolled: 1-line block ×6, first 2 shown]
	v_fma_f32 v6, v7, 2.0, -v0
	v_fma_f32 v7, v8, 2.0, -v1
	v_add_f32_e32 v8, v10, v12
	v_sub_f32_e32 v9, v11, v9
	v_fma_f32 v12, v2, 2.0, -v17
	v_fma_f32 v13, v3, 2.0, -v20
	;; [unrolled: 1-line block ×6, first 2 shown]
	v_sub_f32_e32 v2, v12, v2
	v_sub_f32_e32 v3, v13, v3
	v_add_f32_e32 v14, v17, v14
	v_sub_f32_e32 v15, v20, v21
	v_fma_f32 v12, v12, 2.0, -v2
	v_fma_f32 v13, v13, 2.0, -v3
	;; [unrolled: 1-line block ×4, first 2 shown]
	s_barrier
	ds_write2_b64 v211, v[6:7], v[10:11] offset1:196
	ds_write2_b64 v212, v[0:1], v[8:9] offset0:8 offset1:204
	ds_write2_b64 v187, v[12:13], v[16:17] offset0:16 offset1:212
	;; [unrolled: 1-line block ×3, first 2 shown]
	buffer_load_dword v0, off, s[24:27], 0 offset:276 ; 4-byte Folded Reload
	v_fmac_f32_e32 v52, v94, v54
	v_mul_f32_e32 v54, v227, v61
	v_fmac_f32_e32 v54, v226, v60
	v_sub_f32_e32 v60, v32, v19
	v_sub_f32_e32 v25, v33, v25
	v_sub_f32_e32 v23, v24, v28
	v_sub_f32_e32 v22, v18, v26
	v_fma_f32 v20, v32, 2.0, -v60
	v_fma_f32 v21, v33, 2.0, -v25
	;; [unrolled: 1-line block ×4, first 2 shown]
	v_sub_f32_e32 v18, v20, v19
	v_sub_f32_e32 v19, v21, v24
	v_add_f32_e32 v22, v60, v22
	v_sub_f32_e32 v23, v25, v23
	v_fma_f32 v20, v20, 2.0, -v18
	v_fma_f32 v21, v21, 2.0, -v19
	;; [unrolled: 1-line block ×4, first 2 shown]
	v_sub_f32_e32 v36, v34, v36
	v_sub_f32_e32 v37, v35, v37
	v_fma_f32 v28, v34, 2.0, -v36
	v_sub_f32_e32 v33, v27, v38
	v_sub_f32_e32 v34, v29, v39
	v_fma_f32 v32, v35, 2.0, -v37
	v_fma_f32 v26, v27, 2.0, -v33
	;; [unrolled: 1-line block ×3, first 2 shown]
	v_sub_f32_e32 v27, v32, v27
	v_sub_f32_e32 v26, v28, v26
	v_fma_f32 v29, v32, 2.0, -v27
	v_add_f32_e32 v32, v36, v34
	v_sub_f32_e32 v33, v37, v33
	v_fma_f32 v28, v28, 2.0, -v26
	v_fma_f32 v34, v36, 2.0, -v32
	;; [unrolled: 1-line block ×3, first 2 shown]
	v_sub_f32_e32 v42, v48, v42
	v_sub_f32_e32 v43, v49, v43
	;; [unrolled: 1-line block ×4, first 2 shown]
	v_fma_f32 v38, v48, 2.0, -v42
	v_fma_f32 v39, v49, 2.0, -v43
	;; [unrolled: 1-line block ×4, first 2 shown]
	v_sub_f32_e32 v36, v38, v36
	v_sub_f32_e32 v37, v39, v37
	v_add_f32_e32 v40, v42, v45
	v_sub_f32_e32 v41, v43, v44
	v_fma_f32 v38, v38, 2.0, -v36
	v_fma_f32 v39, v39, 2.0, -v37
	;; [unrolled: 1-line block ×4, first 2 shown]
	v_sub_f32_e32 v52, v50, v52
	v_sub_f32_e32 v53, v51, v53
	v_fma_f32 v48, v50, 2.0, -v52
	v_sub_f32_e32 v50, v46, v54
	v_sub_f32_e32 v30, v47, v30
	v_fma_f32 v49, v51, 2.0, -v53
	v_fma_f32 v44, v46, 2.0, -v50
	;; [unrolled: 1-line block ×3, first 2 shown]
	v_sub_f32_e32 v44, v48, v44
	v_sub_f32_e32 v45, v49, v45
	v_fma_f32 v46, v48, 2.0, -v44
	v_fma_f32 v47, v49, 2.0, -v45
	v_add_f32_e32 v48, v52, v30
	v_sub_f32_e32 v49, v53, v50
	v_fma_f32 v50, v52, 2.0, -v48
	v_fma_f32 v51, v53, 2.0, -v49
	v_fmac_f32_e32 v31, v96, v58
	v_mul_f32_e32 v58, v201, v63
	v_fmac_f32_e32 v58, v200, v62
	v_sub_f32_e32 v30, v4, v56
	v_sub_f32_e32 v57, v5, v57
	;; [unrolled: 1-line block ×4, first 2 shown]
	v_fma_f32 v52, v4, 2.0, -v30
	v_fma_f32 v53, v5, 2.0, -v57
	;; [unrolled: 1-line block ×4, first 2 shown]
	v_sub_f32_e32 v4, v52, v4
	s_waitcnt vmcnt(0)
	ds_write2_b64 v0, v[20:21], v[24:25] offset0:32 offset1:228
	buffer_load_dword v0, off, s[24:27], 0 offset:280 ; 4-byte Folded Reload
	v_sub_f32_e32 v5, v53, v5
	v_add_f32_e32 v54, v30, v54
	v_sub_f32_e32 v55, v57, v56
	v_fma_f32 v52, v52, 2.0, -v4
	v_fma_f32 v53, v53, 2.0, -v5
	;; [unrolled: 1-line block ×4, first 2 shown]
	v_mov_b32_e32 v77, v65
	s_waitcnt vmcnt(0)
	ds_write2_b64 v0, v[18:19], v[22:23] offset0:40 offset1:236
	buffer_load_dword v0, off, s[24:27], 0 offset:284 ; 4-byte Folded Reload
	s_waitcnt vmcnt(0)
	ds_write2_b64 v0, v[28:29], v[34:35] offset0:48 offset1:244
	buffer_load_dword v0, off, s[24:27], 0 offset:288 ; 4-byte Folded Reload
	;; [unrolled: 3-line block ×3, first 2 shown]
	s_waitcnt vmcnt(0)
	ds_write2_b64 v0, v[38:39], v[42:43] offset1:196
	buffer_load_dword v0, off, s[24:27], 0 offset:296 ; 4-byte Folded Reload
	s_waitcnt vmcnt(0)
	ds_write2_b64 v0, v[36:37], v[40:41] offset0:8 offset1:204
	buffer_load_dword v0, off, s[24:27], 0 offset:300 ; 4-byte Folded Reload
	s_waitcnt vmcnt(0)
	ds_write2_b64 v0, v[46:47], v[50:51] offset0:16 offset1:212
	;; [unrolled: 3-line block ×5, first 2 shown]
	s_waitcnt lgkmcnt(0)
	s_barrier
	ds_read2_b64 v[0:3], v211 offset1:196
	ds_read2_b64 v[4:7], v187 offset0:16 offset1:212
	ds_read2_b64 v[8:11], v185 offset0:32 offset1:228
	ds_read2_b64 v[12:15], v65 offset0:48 offset1:244
	ds_read2_b64 v[16:19], v184 offset1:196
	ds_read2_b64 v[20:23], v158 offset0:16 offset1:212
	ds_read2_b64 v[24:27], v160 offset0:32 offset1:228
	;; [unrolled: 1-line block ×9, first 2 shown]
	s_waitcnt lgkmcnt(9)
	v_mul_f32_e32 v62, v119, v19
	v_mul_f32_e32 v28, v109, v5
	v_fmac_f32_e32 v28, v108, v4
	v_mul_f32_e32 v4, v109, v4
	v_fma_f32 v4, v108, v5, -v4
	v_mul_f32_e32 v5, v111, v9
	v_fmac_f32_e32 v5, v110, v8
	v_mul_f32_e32 v8, v111, v8
	v_fma_f32 v8, v110, v9, -v8
	;; [unrolled: 4-line block ×4, first 2 shown]
	s_waitcnt lgkmcnt(8)
	v_mul_f32_e32 v17, v101, v21
	v_fmac_f32_e32 v17, v100, v20
	v_mul_f32_e32 v20, v101, v20
	v_fma_f32 v20, v100, v21, -v20
	s_waitcnt lgkmcnt(7)
	v_mul_f32_e32 v21, v103, v25
	v_fmac_f32_e32 v21, v102, v24
	v_mul_f32_e32 v24, v103, v24
	v_fma_f32 v24, v102, v25, -v24
	v_mul_f32_e32 v25, v121, v7
	v_fmac_f32_e32 v25, v120, v6
	v_mul_f32_e32 v6, v121, v6
	v_fma_f32 v29, v120, v7, -v6
	v_mul_f32_e32 v6, v123, v10
	v_fma_f32 v31, v122, v11, -v6
	;; [unrolled: 2-line block ×3, first 2 shown]
	v_mul_f32_e32 v6, v119, v18
	v_fmac_f32_e32 v62, v118, v18
	v_fma_f32 v18, v118, v19, -v6
	v_mul_f32_e32 v19, v113, v23
	v_mul_f32_e32 v6, v113, v22
	v_fmac_f32_e32 v19, v112, v22
	v_fma_f32 v22, v112, v23, -v6
	v_mul_f32_e32 v23, v115, v27
	v_mul_f32_e32 v6, v115, v26
	v_fmac_f32_e32 v23, v114, v26
	v_fma_f32 v26, v114, v27, -v6
	s_waitcnt lgkmcnt(5)
	v_mul_f32_e32 v63, v133, v37
	v_mul_f32_e32 v6, v133, v36
	v_fmac_f32_e32 v63, v132, v36
	v_fma_f32 v36, v132, v37, -v6
	s_waitcnt lgkmcnt(4)
	;; [unrolled: 5-line block ×6, first 2 shown]
	v_mul_f32_e32 v53, v127, v57
	v_mul_f32_e32 v6, v127, v56
	v_fmac_f32_e32 v53, v126, v56
	v_fma_f32 v56, v126, v57, -v6
	v_mul_f32_e32 v6, v145, v38
	v_fma_f32 v64, v144, v39, -v6
	v_mul_f32_e32 v6, v147, v42
	;; [unrolled: 2-line block ×3, first 2 shown]
	v_mul_f32_e32 v6, v141, v46
	v_fmac_f32_e32 v67, v140, v46
	v_fma_f32 v46, v140, v47, -v6
	v_mul_f32_e32 v47, v143, v51
	v_mul_f32_e32 v6, v143, v50
	v_fmac_f32_e32 v47, v142, v50
	v_fma_f32 v50, v142, v51, -v6
	v_mul_f32_e32 v51, v137, v55
	;; [unrolled: 4-line block ×3, first 2 shown]
	v_mul_f32_e32 v6, v139, v58
	v_mul_f32_e32 v30, v123, v11
	;; [unrolled: 1-line block ×3, first 2 shown]
	v_fmac_f32_e32 v55, v138, v58
	v_fma_f32 v58, v138, v59, -v6
	v_add_f32_e32 v6, v28, v21
	v_add_f32_e32 v11, v5, v17
	v_fmac_f32_e32 v60, v116, v14
	v_add_f32_e32 v7, v4, v24
	v_add_f32_e32 v14, v8, v20
	;; [unrolled: 1-line block ×3, first 2 shown]
	v_sub_f32_e32 v9, v13, v9
	v_add_f32_e32 v13, v11, v6
	v_sub_f32_e32 v5, v5, v17
	v_add_f32_e32 v17, v12, v16
	v_sub_f32_e32 v12, v16, v12
	v_add_f32_e32 v16, v14, v7
	v_add_f32_e32 v13, v15, v13
	v_mul_f32_e32 v57, v145, v39
	v_sub_f32_e32 v4, v4, v24
	v_sub_f32_e32 v8, v8, v20
	;; [unrolled: 1-line block ×5, first 2 shown]
	v_add_f32_e32 v15, v17, v16
	v_add_f32_e32 v0, v0, v13
	v_fmac_f32_e32 v30, v122, v10
	v_fmac_f32_e32 v57, v144, v38
	v_sub_f32_e32 v10, v28, v21
	v_sub_f32_e32 v21, v14, v7
	v_sub_f32_e32 v14, v17, v14
	v_add_f32_e32 v27, v12, v8
	v_sub_f32_e32 v38, v12, v8
	v_sub_f32_e32 v8, v8, v4
	v_add_f32_e32 v1, v1, v15
	v_mov_b32_e32 v39, v0
	v_sub_f32_e32 v7, v7, v17
	v_add_f32_e32 v24, v9, v5
	v_sub_f32_e32 v28, v9, v5
	v_sub_f32_e32 v12, v4, v12
	v_sub_f32_e32 v5, v5, v10
	v_add_f32_e32 v4, v27, v4
	v_mul_f32_e32 v6, 0x3f4a47b2, v6
	v_mul_f32_e32 v16, 0x3d64c772, v11
	;; [unrolled: 1-line block ×5, first 2 shown]
	v_fmac_f32_e32 v39, 0xbf955555, v13
	v_mov_b32_e32 v13, v1
	v_sub_f32_e32 v9, v10, v9
	v_add_f32_e32 v10, v24, v10
	v_mul_f32_e32 v7, 0x3f4a47b2, v7
	v_mul_f32_e32 v24, 0x3f08b237, v28
	;; [unrolled: 1-line block ×3, first 2 shown]
	v_fmac_f32_e32 v13, 0xbf955555, v15
	v_fma_f32 v15, v20, s4, -v16
	v_fma_f32 v16, v21, s4, -v17
	;; [unrolled: 1-line block ×4, first 2 shown]
	v_fmac_f32_e32 v38, 0x3eae86e6, v12
	v_mul_f32_e32 v65, v147, v43
	v_fmac_f32_e32 v6, 0x3d64c772, v11
	v_fma_f32 v11, v21, s3, -v7
	v_fmac_f32_e32 v7, 0x3d64c772, v14
	v_fma_f32 v14, v5, s2, -v24
	v_fmac_f32_e32 v24, 0xbeae86e6, v9
	v_fmac_f32_e32 v27, 0xbeae86e6, v12
	v_fmac_f32_e32 v28, 0x3eae86e6, v9
	v_add_f32_e32 v12, v15, v39
	v_add_f32_e32 v15, v16, v13
	;; [unrolled: 1-line block ×3, first 2 shown]
	v_fmac_f32_e32 v20, 0xbee1c552, v4
	v_fmac_f32_e32 v38, 0xbee1c552, v4
	;; [unrolled: 1-line block ×3, first 2 shown]
	v_add_f32_e32 v21, v6, v39
	v_add_f32_e32 v42, v7, v13
	;; [unrolled: 1-line block ×3, first 2 shown]
	v_fmac_f32_e32 v24, 0xbee1c552, v10
	v_fmac_f32_e32 v14, 0xbee1c552, v10
	;; [unrolled: 1-line block ×3, first 2 shown]
	v_add_f32_e32 v6, v38, v16
	v_sub_f32_e32 v8, v12, v20
	v_add_f32_e32 v10, v20, v12
	v_sub_f32_e32 v12, v16, v38
	;; [unrolled: 2-line block ×3, first 2 shown]
	v_add_f32_e32 v23, v30, v19
	v_fmac_f32_e32 v27, 0xbee1c552, v4
	v_sub_f32_e32 v5, v42, v24
	v_sub_f32_e32 v7, v13, v28
	v_add_f32_e32 v9, v14, v15
	v_sub_f32_e32 v11, v15, v14
	v_add_f32_e32 v13, v28, v13
	v_add_f32_e32 v15, v24, v42
	;; [unrolled: 1-line block ×7, first 2 shown]
	v_sub_f32_e32 v14, v21, v27
	v_sub_f32_e32 v21, v29, v26
	;; [unrolled: 1-line block ×3, first 2 shown]
	v_add_f32_e32 v26, v61, v18
	v_add_f32_e32 v29, v24, v17
	v_sub_f32_e32 v30, v23, v16
	v_sub_f32_e32 v16, v16, v25
	v_sub_f32_e32 v23, v25, v23
	v_add_f32_e32 v25, v25, v28
	v_sub_f32_e32 v22, v31, v22
	v_sub_f32_e32 v27, v62, v60
	;; [unrolled: 1-line block ×6, first 2 shown]
	v_add_f32_e32 v26, v26, v29
	v_add_f32_e32 v2, v2, v25
	;; [unrolled: 1-line block ×4, first 2 shown]
	v_sub_f32_e32 v42, v27, v19
	v_sub_f32_e32 v43, v18, v22
	;; [unrolled: 1-line block ×3, first 2 shown]
	v_add_f32_e32 v3, v3, v26
	v_mov_b32_e32 v59, v2
	v_sub_f32_e32 v27, v20, v27
	v_sub_f32_e32 v18, v21, v18
	;; [unrolled: 1-line block ×3, first 2 shown]
	v_add_f32_e32 v20, v38, v20
	v_add_f32_e32 v21, v39, v21
	v_mul_f32_e32 v16, 0x3f4a47b2, v16
	v_mul_f32_e32 v17, 0x3f4a47b2, v17
	;; [unrolled: 1-line block ×7, first 2 shown]
	v_fmac_f32_e32 v59, 0xbf955555, v25
	v_mov_b32_e32 v25, v3
	v_mul_f32_e32 v42, 0x3f5ff5aa, v19
	v_fmac_f32_e32 v25, 0xbf955555, v26
	v_fma_f32 v26, v30, s4, -v28
	v_fma_f32 v28, v31, s4, -v29
	;; [unrolled: 1-line block ×3, first 2 shown]
	v_fmac_f32_e32 v16, 0x3d64c772, v23
	v_fma_f32 v23, v31, s3, -v17
	v_fmac_f32_e32 v17, 0x3d64c772, v24
	v_fma_f32 v24, v19, s2, -v38
	v_fmac_f32_e32 v43, 0x3eae86e6, v18
	v_fmac_f32_e32 v38, 0xbeae86e6, v27
	v_fma_f32 v22, v22, s2, -v39
	v_fmac_f32_e32 v39, 0xbeae86e6, v18
	v_fmac_f32_e32 v42, 0x3eae86e6, v27
	v_add_f32_e32 v28, v28, v25
	v_add_f32_e32 v29, v29, v59
	v_fmac_f32_e32 v24, 0xbee1c552, v20
	v_fmac_f32_e32 v43, 0xbee1c552, v21
	v_add_f32_e32 v27, v16, v59
	v_add_f32_e32 v30, v17, v25
	;; [unrolled: 1-line block ×4, first 2 shown]
	v_fmac_f32_e32 v38, 0xbee1c552, v20
	v_fmac_f32_e32 v39, 0xbee1c552, v21
	;; [unrolled: 1-line block ×4, first 2 shown]
	v_add_f32_e32 v18, v43, v29
	v_add_f32_e32 v21, v24, v28
	v_sub_f32_e32 v23, v28, v24
	v_sub_f32_e32 v24, v29, v43
	v_add_f32_e32 v28, v63, v53
	v_add_f32_e32 v29, v36, v56
	v_sub_f32_e32 v31, v36, v56
	v_add_f32_e32 v36, v37, v49
	v_add_f32_e32 v16, v39, v27
	v_sub_f32_e32 v17, v30, v38
	v_sub_f32_e32 v19, v25, v42
	;; [unrolled: 1-line block ×3, first 2 shown]
	v_add_f32_e32 v22, v22, v26
	v_add_f32_e32 v25, v42, v25
	v_sub_f32_e32 v26, v27, v39
	v_add_f32_e32 v27, v38, v30
	v_add_f32_e32 v38, v40, v52
	v_sub_f32_e32 v37, v37, v49
	v_sub_f32_e32 v39, v40, v52
	v_add_f32_e32 v40, v41, v45
	v_add_f32_e32 v42, v44, v48
	v_sub_f32_e32 v41, v45, v41
	v_sub_f32_e32 v43, v48, v44
	v_add_f32_e32 v44, v36, v28
	v_sub_f32_e32 v30, v63, v53
	v_add_f32_e32 v45, v38, v29
	v_sub_f32_e32 v48, v36, v28
	v_sub_f32_e32 v52, v28, v40
	;; [unrolled: 1-line block ×3, first 2 shown]
	v_add_f32_e32 v28, v41, v37
	v_add_f32_e32 v40, v40, v44
	v_sub_f32_e32 v49, v38, v29
	v_sub_f32_e32 v53, v29, v42
	;; [unrolled: 1-line block ×3, first 2 shown]
	v_add_f32_e32 v29, v43, v39
	v_sub_f32_e32 v56, v41, v37
	v_sub_f32_e32 v41, v30, v41
	;; [unrolled: 1-line block ×3, first 2 shown]
	v_add_f32_e32 v42, v42, v45
	v_add_f32_e32 v30, v28, v30
	;; [unrolled: 1-line block ×3, first 2 shown]
	v_sub_f32_e32 v59, v43, v39
	v_sub_f32_e32 v43, v31, v43
	;; [unrolled: 1-line block ×3, first 2 shown]
	v_add_f32_e32 v31, v29, v31
	v_add_f32_e32 v29, v33, v42
	v_mov_b32_e32 v60, v28
	v_mul_f32_e32 v32, 0x3f4a47b2, v52
	v_mul_f32_e32 v33, 0x3f4a47b2, v53
	;; [unrolled: 1-line block ×5, first 2 shown]
	v_fmac_f32_e32 v60, 0xbf955555, v40
	v_mov_b32_e32 v40, v29
	v_mul_f32_e32 v53, 0x3f08b237, v59
	v_mul_f32_e32 v56, 0x3f5ff5aa, v37
	;; [unrolled: 1-line block ×3, first 2 shown]
	v_fmac_f32_e32 v40, 0xbf955555, v42
	v_fma_f32 v42, v48, s4, -v44
	v_fma_f32 v44, v49, s4, -v45
	;; [unrolled: 1-line block ×3, first 2 shown]
	v_fmac_f32_e32 v32, 0x3d64c772, v36
	v_fma_f32 v36, v49, s3, -v33
	v_fmac_f32_e32 v33, 0x3d64c772, v38
	v_fma_f32 v48, v37, s2, -v52
	;; [unrolled: 2-line block ×3, first 2 shown]
	v_fmac_f32_e32 v53, 0xbeae86e6, v43
	v_fmac_f32_e32 v56, 0x3eae86e6, v41
	;; [unrolled: 1-line block ×3, first 2 shown]
	v_add_f32_e32 v62, v33, v40
	v_fmac_f32_e32 v52, 0xbee1c552, v30
	v_add_f32_e32 v61, v32, v60
	v_add_f32_e32 v41, v42, v60
	;; [unrolled: 1-line block ×5, first 2 shown]
	v_fmac_f32_e32 v53, 0xbee1c552, v31
	v_fmac_f32_e32 v48, 0xbee1c552, v30
	v_fmac_f32_e32 v49, 0xbee1c552, v31
	v_fmac_f32_e32 v56, 0xbee1c552, v30
	v_fmac_f32_e32 v59, 0xbee1c552, v31
	v_sub_f32_e32 v33, v62, v52
	v_add_f32_e32 v45, v52, v62
	v_add_f32_e32 v30, v57, v55
	;; [unrolled: 1-line block ×5, first 2 shown]
	v_sub_f32_e32 v37, v44, v56
	v_sub_f32_e32 v38, v41, v49
	v_add_f32_e32 v39, v48, v42
	v_add_f32_e32 v40, v49, v41
	v_sub_f32_e32 v41, v42, v48
	v_sub_f32_e32 v42, v43, v59
	v_add_f32_e32 v43, v56, v44
	v_sub_f32_e32 v44, v61, v53
	v_add_f32_e32 v31, v64, v58
	;; [unrolled: 2-line block ×3, first 2 shown]
	v_add_f32_e32 v55, v67, v47
	v_add_f32_e32 v56, v46, v50
	v_sub_f32_e32 v46, v50, v46
	v_add_f32_e32 v50, v52, v30
	v_add_f32_e32 v57, v53, v31
	;; [unrolled: 1-line block ×3, first 2 shown]
	ds_write_b64 v211, v[4:5] offset:6272
	ds_write_b64 v211, v[6:7] offset:12544
	;; [unrolled: 1-line block ×6, first 2 shown]
	ds_write2_b64 v211, v[0:1], v[2:3] offset1:196
	v_add_u32_e32 v0, 0x1e00, v211
	v_sub_f32_e32 v49, v64, v58
	v_sub_f32_e32 v51, v65, v51
	;; [unrolled: 1-line block ×7, first 2 shown]
	v_add_f32_e32 v55, v56, v57
	v_add_f32_e32 v34, v34, v50
	ds_write2_b64 v0, v[16:17], v[32:33] offset0:20 offset1:216
	v_add_u32_e32 v0, 0x3600, v211
	v_sub_f32_e32 v59, v53, v31
	v_sub_f32_e32 v31, v31, v56
	;; [unrolled: 1-line block ×3, first 2 shown]
	v_add_f32_e32 v60, v47, v51
	v_add_f32_e32 v61, v46, v54
	v_sub_f32_e32 v62, v47, v51
	v_sub_f32_e32 v63, v46, v54
	;; [unrolled: 1-line block ×4, first 2 shown]
	v_add_f32_e32 v35, v35, v55
	v_mov_b32_e32 v64, v34
	ds_write2_b64 v0, v[18:19], v[36:37] offset0:36 offset1:232
	v_add_u32_e32 v0, 0x4e00, v211
	v_sub_f32_e32 v47, v48, v47
	v_sub_f32_e32 v46, v49, v46
	v_add_f32_e32 v48, v60, v48
	v_add_f32_e32 v49, v61, v49
	v_mul_f32_e32 v30, 0x3f4a47b2, v30
	v_mul_f32_e32 v31, 0x3f4a47b2, v31
	;; [unrolled: 1-line block ×8, first 2 shown]
	v_fmac_f32_e32 v64, 0xbf955555, v50
	v_mov_b32_e32 v50, v35
	ds_write2_b64 v0, v[20:21], v[38:39] offset0:52 offset1:248
	v_add_u32_e32 v0, 0x6800, v211
	v_fmac_f32_e32 v50, 0xbf955555, v55
	v_fma_f32 v55, v58, s4, -v56
	v_fma_f32 v56, v59, s4, -v57
	;; [unrolled: 1-line block ×3, first 2 shown]
	v_fmac_f32_e32 v30, 0x3d64c772, v52
	v_fma_f32 v52, v59, s3, -v31
	v_fmac_f32_e32 v31, 0x3d64c772, v53
	v_fma_f32 v53, v51, s2, -v60
	;; [unrolled: 2-line block ×3, first 2 shown]
	v_fmac_f32_e32 v61, 0xbeae86e6, v46
	v_fmac_f32_e32 v62, 0x3eae86e6, v47
	;; [unrolled: 1-line block ×3, first 2 shown]
	ds_write2_b64 v0, v[22:23], v[40:41] offset0:4 offset1:200
	v_add_u32_e32 v0, 0x8000, v211
	v_add_f32_e32 v30, v30, v64
	v_add_f32_e32 v31, v31, v50
	;; [unrolled: 1-line block ×6, first 2 shown]
	v_fmac_f32_e32 v60, 0xbee1c552, v48
	v_fmac_f32_e32 v61, 0xbee1c552, v49
	;; [unrolled: 1-line block ×6, first 2 shown]
	ds_write2_b64 v0, v[24:25], v[42:43] offset0:20 offset1:216
	v_add_u32_e32 v0, 0x9800, v211
	v_add_f32_e32 v46, v61, v30
	v_sub_f32_e32 v47, v31, v60
	v_add_f32_e32 v48, v63, v57
	v_sub_f32_e32 v49, v58, v62
	v_sub_f32_e32 v50, v55, v54
	v_add_f32_e32 v51, v53, v56
	v_add_f32_e32 v52, v54, v55
	v_sub_f32_e32 v53, v56, v53
	v_sub_f32_e32 v54, v57, v63
	v_add_f32_e32 v55, v62, v58
	v_sub_f32_e32 v56, v30, v61
	v_add_f32_e32 v57, v60, v31
	ds_write2_b64 v0, v[26:27], v[44:45] offset0:36 offset1:232
	ds_write2_b64 v212, v[28:29], v[34:35] offset0:8 offset1:204
	ds_write_b64 v211, v[46:47] offset:10976
	ds_write_b64 v211, v[48:49] offset:17248
	ds_write_b64 v211, v[50:51] offset:23520
	ds_write_b64 v211, v[52:53] offset:29792
	ds_write_b64 v211, v[54:55] offset:36064
	ds_write_b64 v211, v[56:57] offset:42336
	s_waitcnt lgkmcnt(0)
	s_barrier
	ds_read2_b64 v[0:3], v211 offset1:196
	buffer_load_dword v5, off, s[24:27], 0 offset:324 ; 4-byte Folded Reload
	buffer_load_dword v6, off, s[24:27], 0 offset:328 ; 4-byte Folded Reload
	s_mov_b32 s2, 0x515a4f1d
	s_mov_b32 s3, 0x3f27e225
	v_mov_b32_e32 v8, s13
	s_waitcnt vmcnt(0) lgkmcnt(0)
	v_mul_f32_e32 v4, v6, v1
	v_mov_b32_e32 v7, v6
	v_fmac_f32_e32 v4, v5, v0
	v_mov_b32_e32 v6, v5
	v_mul_f32_e32 v0, v7, v0
	v_fma_f32 v0, v6, v1, -v0
	v_cvt_f64_f32_e32 v[4:5], v4
	v_cvt_f64_f32_e32 v[0:1], v0
	v_mul_f64 v[4:5], v[4:5], s[2:3]
	v_mul_f64 v[0:1], v[0:1], s[2:3]
	v_cvt_f32_f64_e32 v4, v[4:5]
	v_cvt_f32_f64_e32 v5, v[0:1]
	v_mad_u64_u32 v[0:1], s[4:5], s0, v210, 0
	v_mad_u64_u32 v[6:7], s[4:5], s1, v210, v[1:2]
	s_mul_i32 s4, s1, 0x1880
	s_mul_hi_u32 s5, s0, 0x1880
	v_mov_b32_e32 v1, v6
	buffer_load_dword v6, off, s[24:27], 0 offset:176 ; 4-byte Folded Reload
	buffer_load_dword v7, off, s[24:27], 0 offset:180 ; 4-byte Folded Reload
	v_lshlrev_b64 v[0:1], 3, v[0:1]
	s_add_i32 s4, s5, s4
	s_mul_i32 s5, s0, 0x1880
	s_mul_i32 s1, s1, 0xffff7320
	s_add_i32 s1, s6, s1
	s_mul_i32 s0, s0, 0xffff7320
	s_waitcnt vmcnt(0)
	v_lshlrev_b64 v[6:7], 3, v[6:7]
	v_add_co_u32_e32 v6, vcc, s12, v6
	v_addc_co_u32_e32 v7, vcc, v8, v7, vcc
	v_add_co_u32_e32 v0, vcc, v6, v0
	v_addc_co_u32_e32 v1, vcc, v7, v1, vcc
	global_store_dwordx2 v[0:1], v[4:5], off
	ds_read2_b64 v[4:7], v187 offset0:16 offset1:212
	buffer_load_dword v9, off, s[24:27], 0 offset:316 ; 4-byte Folded Reload
	buffer_load_dword v10, off, s[24:27], 0 offset:320 ; 4-byte Folded Reload
	v_add_co_u32_e32 v0, vcc, s5, v0
	s_waitcnt vmcnt(0) lgkmcnt(0)
	v_mul_f32_e32 v8, v10, v5
	v_mov_b32_e32 v11, v10
	v_fmac_f32_e32 v8, v9, v4
	v_mov_b32_e32 v10, v9
	v_mul_f32_e32 v4, v11, v4
	v_fma_f32 v4, v10, v5, -v4
	v_cvt_f64_f32_e32 v[8:9], v8
	v_cvt_f64_f32_e32 v[4:5], v4
	v_mul_f64 v[8:9], v[8:9], s[2:3]
	v_mul_f64 v[4:5], v[4:5], s[2:3]
	v_cvt_f32_f64_e32 v8, v[8:9]
	v_cvt_f32_f64_e32 v9, v[4:5]
	v_mov_b32_e32 v4, s4
	v_addc_co_u32_e32 v1, vcc, v1, v4, vcc
	global_store_dwordx2 v[0:1], v[8:9], off
	ds_read2_b64 v[8:11], v185 offset0:32 offset1:228
	buffer_load_dword v12, off, s[24:27], 0 offset:208 ; 4-byte Folded Reload
	buffer_load_dword v13, off, s[24:27], 0 offset:212 ; 4-byte Folded Reload
	v_add_co_u32_e32 v0, vcc, s5, v0
	s_waitcnt vmcnt(0) lgkmcnt(0)
	v_mul_f32_e32 v4, v13, v9
	v_fmac_f32_e32 v4, v12, v8
	v_cvt_f64_f32_e32 v[4:5], v4
	v_mul_f64 v[4:5], v[4:5], s[2:3]
	v_cvt_f32_f64_e32 v4, v[4:5]
	v_mul_f32_e32 v5, v13, v8
	v_fma_f32 v5, v12, v9, -v5
	v_cvt_f64_f32_e32 v[8:9], v5
	ds_read2_b64 v[12:15], v77 offset0:48 offset1:244
	v_mul_f64 v[8:9], v[8:9], s[2:3]
	v_cvt_f32_f64_e32 v5, v[8:9]
	v_mov_b32_e32 v8, s4
	v_addc_co_u32_e32 v1, vcc, v1, v8, vcc
	global_store_dwordx2 v[0:1], v[4:5], off
	buffer_load_dword v8, off, s[24:27], 0 offset:200 ; 4-byte Folded Reload
	buffer_load_dword v9, off, s[24:27], 0 offset:204 ; 4-byte Folded Reload
	v_add_co_u32_e32 v0, vcc, s5, v0
	ds_read2_b64 v[16:19], v184 offset1:196
	s_waitcnt vmcnt(0) lgkmcnt(1)
	v_mul_f32_e32 v4, v9, v13
	v_fmac_f32_e32 v4, v8, v12
	v_cvt_f64_f32_e32 v[4:5], v4
	v_mul_f64 v[4:5], v[4:5], s[2:3]
	v_cvt_f32_f64_e32 v4, v[4:5]
	v_mul_f32_e32 v5, v9, v12
	v_fma_f32 v5, v8, v13, -v5
	v_cvt_f64_f32_e32 v[8:9], v5
	v_mul_f64 v[8:9], v[8:9], s[2:3]
	v_cvt_f32_f64_e32 v5, v[8:9]
	v_mov_b32_e32 v8, s4
	v_addc_co_u32_e32 v1, vcc, v1, v8, vcc
	global_store_dwordx2 v[0:1], v[4:5], off
	buffer_load_dword v8, off, s[24:27], 0 offset:192 ; 4-byte Folded Reload
	buffer_load_dword v9, off, s[24:27], 0 offset:196 ; 4-byte Folded Reload
	v_add_co_u32_e32 v0, vcc, s5, v0
	ds_read2_b64 v[20:23], v158 offset0:16 offset1:212
	s_waitcnt vmcnt(0) lgkmcnt(1)
	v_mul_f32_e32 v4, v9, v17
	v_fmac_f32_e32 v4, v8, v16
	v_cvt_f64_f32_e32 v[4:5], v4
	v_mul_f64 v[4:5], v[4:5], s[2:3]
	v_cvt_f32_f64_e32 v4, v[4:5]
	v_mul_f32_e32 v5, v9, v16
	v_fma_f32 v5, v8, v17, -v5
	v_cvt_f64_f32_e32 v[8:9], v5
	v_mul_f64 v[8:9], v[8:9], s[2:3]
	v_cvt_f32_f64_e32 v5, v[8:9]
	v_mov_b32_e32 v8, s4
	v_addc_co_u32_e32 v1, vcc, v1, v8, vcc
	global_store_dwordx2 v[0:1], v[4:5], off
	buffer_load_dword v8, off, s[24:27], 0 offset:168 ; 4-byte Folded Reload
	buffer_load_dword v9, off, s[24:27], 0 offset:172 ; 4-byte Folded Reload
	v_add_co_u32_e32 v0, vcc, s5, v0
	ds_read2_b64 v[24:27], v160 offset0:32 offset1:228
	s_waitcnt vmcnt(0) lgkmcnt(1)
	v_mul_f32_e32 v4, v9, v21
	v_fmac_f32_e32 v4, v8, v20
	v_cvt_f64_f32_e32 v[4:5], v4
	v_mul_f64 v[4:5], v[4:5], s[2:3]
	v_cvt_f32_f64_e32 v4, v[4:5]
	v_mul_f32_e32 v5, v9, v20
	v_fma_f32 v5, v8, v21, -v5
	v_cvt_f64_f32_e32 v[8:9], v5
	v_mul_f64 v[8:9], v[8:9], s[2:3]
	v_cvt_f32_f64_e32 v5, v[8:9]
	v_mov_b32_e32 v8, s4
	v_addc_co_u32_e32 v1, vcc, v1, v8, vcc
	global_store_dwordx2 v[0:1], v[4:5], off
	buffer_load_dword v8, off, s[24:27], 0 offset:160 ; 4-byte Folded Reload
	buffer_load_dword v9, off, s[24:27], 0 offset:164 ; 4-byte Folded Reload
	v_add_co_u32_e32 v0, vcc, s5, v0
	s_waitcnt vmcnt(0) lgkmcnt(0)
	v_mul_f32_e32 v4, v9, v25
	v_fmac_f32_e32 v4, v8, v24
	v_cvt_f64_f32_e32 v[4:5], v4
	v_mul_f64 v[4:5], v[4:5], s[2:3]
	v_cvt_f32_f64_e32 v4, v[4:5]
	v_mul_f32_e32 v5, v9, v24
	v_fma_f32 v5, v8, v25, -v5
	v_cvt_f64_f32_e32 v[8:9], v5
	v_mul_f64 v[8:9], v[8:9], s[2:3]
	v_cvt_f32_f64_e32 v5, v[8:9]
	v_mov_b32_e32 v8, s4
	v_addc_co_u32_e32 v1, vcc, v1, v8, vcc
	global_store_dwordx2 v[0:1], v[4:5], off
	buffer_load_dword v8, off, s[24:27], 0 offset:152 ; 4-byte Folded Reload
	buffer_load_dword v9, off, s[24:27], 0 offset:156 ; 4-byte Folded Reload
	v_add_co_u32_e32 v0, vcc, s0, v0
	s_waitcnt vmcnt(0)
	v_mul_f32_e32 v4, v9, v3
	v_fmac_f32_e32 v4, v8, v2
	v_mul_f32_e32 v2, v9, v2
	v_fma_f32 v2, v8, v3, -v2
	v_cvt_f64_f32_e32 v[4:5], v4
	v_cvt_f64_f32_e32 v[2:3], v2
	v_mul_f64 v[4:5], v[4:5], s[2:3]
	v_mul_f64 v[2:3], v[2:3], s[2:3]
	v_cvt_f32_f64_e32 v4, v[4:5]
	v_cvt_f32_f64_e32 v5, v[2:3]
	v_mov_b32_e32 v2, s1
	v_addc_co_u32_e32 v1, vcc, v1, v2, vcc
	global_store_dwordx2 v[0:1], v[4:5], off
	buffer_load_dword v3, off, s[24:27], 0 offset:144 ; 4-byte Folded Reload
	s_nop 0
	buffer_load_dword v4, off, s[24:27], 0 offset:148 ; 4-byte Folded Reload
	v_add_co_u32_e32 v0, vcc, s5, v0
	s_waitcnt vmcnt(0)
	v_mul_f32_e32 v2, v4, v7
	v_fmac_f32_e32 v2, v3, v6
	v_mov_b32_e32 v5, v4
	v_mov_b32_e32 v4, v3
	v_cvt_f64_f32_e32 v[2:3], v2
	v_mul_f64 v[2:3], v[2:3], s[2:3]
	v_cvt_f32_f64_e32 v2, v[2:3]
	v_mul_f32_e32 v3, v5, v6
	v_fma_f32 v3, v4, v7, -v3
	v_cvt_f64_f32_e32 v[3:4], v3
	v_mul_f64 v[3:4], v[3:4], s[2:3]
	v_cvt_f32_f64_e32 v3, v[3:4]
	v_mov_b32_e32 v4, s4
	v_addc_co_u32_e32 v1, vcc, v1, v4, vcc
	global_store_dwordx2 v[0:1], v[2:3], off
	buffer_load_dword v3, off, s[24:27], 0 offset:136 ; 4-byte Folded Reload
	s_nop 0
	buffer_load_dword v4, off, s[24:27], 0 offset:140 ; 4-byte Folded Reload
	v_add_co_u32_e32 v0, vcc, s5, v0
	s_waitcnt vmcnt(0)
	v_mul_f32_e32 v2, v4, v11
	v_fmac_f32_e32 v2, v3, v10
	v_mov_b32_e32 v5, v4
	v_mov_b32_e32 v4, v3
	v_cvt_f64_f32_e32 v[2:3], v2
	v_mul_f64 v[2:3], v[2:3], s[2:3]
	v_cvt_f32_f64_e32 v2, v[2:3]
	v_mul_f32_e32 v3, v5, v10
	v_fma_f32 v3, v4, v11, -v3
	v_cvt_f64_f32_e32 v[3:4], v3
	v_mul_f64 v[3:4], v[3:4], s[2:3]
	;; [unrolled: 20-line block ×5, first 2 shown]
	v_cvt_f32_f64_e32 v3, v[3:4]
	v_mov_b32_e32 v4, s4
	v_addc_co_u32_e32 v1, vcc, v1, v4, vcc
	global_store_dwordx2 v[0:1], v[2:3], off
	buffer_load_dword v3, off, s[24:27], 0 offset:128 ; 4-byte Folded Reload
	s_nop 0
	buffer_load_dword v4, off, s[24:27], 0 offset:132 ; 4-byte Folded Reload
	s_waitcnt vmcnt(0)
	v_mul_f32_e32 v2, v4, v27
	v_fmac_f32_e32 v2, v3, v26
	v_mov_b32_e32 v5, v4
	v_mov_b32_e32 v4, v3
	v_cvt_f64_f32_e32 v[2:3], v2
	v_mul_f64 v[2:3], v[2:3], s[2:3]
	v_cvt_f32_f64_e32 v2, v[2:3]
	v_mul_f32_e32 v3, v5, v26
	v_fma_f32 v3, v4, v27, -v3
	v_cvt_f64_f32_e32 v[3:4], v3
	v_mul_f64 v[3:4], v[3:4], s[2:3]
	v_cvt_f32_f64_e32 v3, v[3:4]
	v_add_co_u32_e32 v4, vcc, s5, v0
	v_mov_b32_e32 v0, s4
	v_addc_co_u32_e32 v5, vcc, v1, v0, vcc
	global_store_dwordx2 v[4:5], v[2:3], off
	ds_read2_b64 v[0:3], v212 offset0:8 offset1:204
	buffer_load_dword v7, off, s[24:27], 0 offset:112 ; 4-byte Folded Reload
	buffer_load_dword v8, off, s[24:27], 0 offset:116 ; 4-byte Folded Reload
	s_waitcnt vmcnt(0) lgkmcnt(0)
	v_mul_f32_e32 v6, v8, v1
	v_mov_b32_e32 v9, v8
	v_fmac_f32_e32 v6, v7, v0
	v_mov_b32_e32 v8, v7
	v_mul_f32_e32 v0, v9, v0
	v_fma_f32 v0, v8, v1, -v0
	v_cvt_f64_f32_e32 v[6:7], v6
	v_cvt_f64_f32_e32 v[0:1], v0
	v_mul_f64 v[6:7], v[6:7], s[2:3]
	v_mul_f64 v[0:1], v[0:1], s[2:3]
	v_cvt_f32_f64_e32 v6, v[6:7]
	v_cvt_f32_f64_e32 v7, v[0:1]
	v_add_co_u32_e32 v0, vcc, s0, v4
	v_mov_b32_e32 v1, s1
	v_addc_co_u32_e32 v1, vcc, v5, v1, vcc
	global_store_dwordx2 v[0:1], v[6:7], off
	ds_read2_b64 v[4:7], v73 offset0:24 offset1:220
	buffer_load_dword v9, off, s[24:27], 0 offset:88 ; 4-byte Folded Reload
	buffer_load_dword v10, off, s[24:27], 0 offset:92 ; 4-byte Folded Reload
	v_add_co_u32_e32 v0, vcc, s5, v0
	s_waitcnt vmcnt(0) lgkmcnt(0)
	v_mul_f32_e32 v8, v10, v5
	v_mov_b32_e32 v11, v10
	v_fmac_f32_e32 v8, v9, v4
	v_mov_b32_e32 v10, v9
	v_mul_f32_e32 v4, v11, v4
	v_fma_f32 v4, v10, v5, -v4
	v_cvt_f64_f32_e32 v[8:9], v8
	v_cvt_f64_f32_e32 v[4:5], v4
	v_mul_f64 v[8:9], v[8:9], s[2:3]
	v_mul_f64 v[4:5], v[4:5], s[2:3]
	v_cvt_f32_f64_e32 v8, v[8:9]
	v_cvt_f32_f64_e32 v9, v[4:5]
	v_mov_b32_e32 v4, s4
	v_addc_co_u32_e32 v1, vcc, v1, v4, vcc
	global_store_dwordx2 v[0:1], v[8:9], off
	ds_read2_b64 v[8:11], v228 offset0:40 offset1:236
	buffer_load_dword v12, off, s[24:27], 0 offset:80 ; 4-byte Folded Reload
	buffer_load_dword v13, off, s[24:27], 0 offset:84 ; 4-byte Folded Reload
	v_add_co_u32_e32 v0, vcc, s5, v0
	s_waitcnt vmcnt(0) lgkmcnt(0)
	v_mul_f32_e32 v4, v13, v9
	v_fmac_f32_e32 v4, v12, v8
	v_cvt_f64_f32_e32 v[4:5], v4
	v_mul_f64 v[4:5], v[4:5], s[2:3]
	v_cvt_f32_f64_e32 v4, v[4:5]
	v_mul_f32_e32 v5, v13, v8
	v_fma_f32 v5, v12, v9, -v5
	v_cvt_f64_f32_e32 v[8:9], v5
	ds_read2_b64 v[12:15], v217 offset0:56 offset1:252
	v_mul_f64 v[8:9], v[8:9], s[2:3]
	v_cvt_f32_f64_e32 v5, v[8:9]
	v_mov_b32_e32 v8, s4
	v_addc_co_u32_e32 v1, vcc, v1, v8, vcc
	global_store_dwordx2 v[0:1], v[4:5], off
	buffer_load_dword v8, off, s[24:27], 0 offset:56 ; 4-byte Folded Reload
	buffer_load_dword v9, off, s[24:27], 0 offset:60 ; 4-byte Folded Reload
	v_add_co_u32_e32 v0, vcc, s5, v0
	ds_read2_b64 v[16:19], v223 offset0:8 offset1:204
	s_waitcnt vmcnt(0) lgkmcnt(1)
	v_mul_f32_e32 v4, v9, v13
	v_fmac_f32_e32 v4, v8, v12
	v_cvt_f64_f32_e32 v[4:5], v4
	v_mul_f64 v[4:5], v[4:5], s[2:3]
	v_cvt_f32_f64_e32 v4, v[4:5]
	v_mul_f32_e32 v5, v9, v12
	v_fma_f32 v5, v8, v13, -v5
	v_cvt_f64_f32_e32 v[8:9], v5
	v_mul_f64 v[8:9], v[8:9], s[2:3]
	v_cvt_f32_f64_e32 v5, v[8:9]
	v_mov_b32_e32 v8, s4
	v_addc_co_u32_e32 v1, vcc, v1, v8, vcc
	global_store_dwordx2 v[0:1], v[4:5], off
	buffer_load_dword v8, off, s[24:27], 0 offset:16 ; 4-byte Folded Reload
	buffer_load_dword v9, off, s[24:27], 0 offset:20 ; 4-byte Folded Reload
	v_add_co_u32_e32 v0, vcc, s5, v0
	ds_read2_b64 v[20:23], v164 offset0:24 offset1:220
	s_waitcnt vmcnt(0) lgkmcnt(1)
	v_mul_f32_e32 v4, v9, v17
	v_fmac_f32_e32 v4, v8, v16
	v_cvt_f64_f32_e32 v[4:5], v4
	v_mul_f64 v[4:5], v[4:5], s[2:3]
	v_cvt_f32_f64_e32 v4, v[4:5]
	v_mul_f32_e32 v5, v9, v16
	v_fma_f32 v5, v8, v17, -v5
	v_cvt_f64_f32_e32 v[8:9], v5
	;; [unrolled: 18-line block ×3, first 2 shown]
	v_mul_f64 v[8:9], v[8:9], s[2:3]
	v_cvt_f32_f64_e32 v5, v[8:9]
	v_mov_b32_e32 v8, s4
	v_addc_co_u32_e32 v1, vcc, v1, v8, vcc
	global_store_dwordx2 v[0:1], v[4:5], off
	buffer_load_dword v8, off, s[24:27], 0  ; 4-byte Folded Reload
	buffer_load_dword v9, off, s[24:27], 0 offset:4 ; 4-byte Folded Reload
	v_add_co_u32_e32 v0, vcc, s5, v0
	s_waitcnt vmcnt(0) lgkmcnt(0)
	v_mul_f32_e32 v4, v9, v25
	v_fmac_f32_e32 v4, v8, v24
	v_cvt_f64_f32_e32 v[4:5], v4
	v_mul_f64 v[4:5], v[4:5], s[2:3]
	v_cvt_f32_f64_e32 v4, v[4:5]
	v_mul_f32_e32 v5, v9, v24
	v_fma_f32 v5, v8, v25, -v5
	v_cvt_f64_f32_e32 v[8:9], v5
	v_mul_f64 v[8:9], v[8:9], s[2:3]
	v_cvt_f32_f64_e32 v5, v[8:9]
	v_mov_b32_e32 v8, s4
	v_addc_co_u32_e32 v1, vcc, v1, v8, vcc
	global_store_dwordx2 v[0:1], v[4:5], off
	buffer_load_dword v8, off, s[24:27], 0 offset:72 ; 4-byte Folded Reload
	buffer_load_dword v9, off, s[24:27], 0 offset:76 ; 4-byte Folded Reload
	v_add_co_u32_e32 v0, vcc, s0, v0
	s_waitcnt vmcnt(0)
	v_mul_f32_e32 v4, v9, v3
	v_fmac_f32_e32 v4, v8, v2
	v_mul_f32_e32 v2, v9, v2
	v_fma_f32 v2, v8, v3, -v2
	v_cvt_f64_f32_e32 v[4:5], v4
	v_cvt_f64_f32_e32 v[2:3], v2
	v_mul_f64 v[4:5], v[4:5], s[2:3]
	v_mul_f64 v[2:3], v[2:3], s[2:3]
	v_cvt_f32_f64_e32 v4, v[4:5]
	v_cvt_f32_f64_e32 v5, v[2:3]
	v_mov_b32_e32 v2, s1
	v_addc_co_u32_e32 v1, vcc, v1, v2, vcc
	global_store_dwordx2 v[0:1], v[4:5], off
	buffer_load_dword v3, off, s[24:27], 0 offset:32 ; 4-byte Folded Reload
	s_nop 0
	buffer_load_dword v4, off, s[24:27], 0 offset:36 ; 4-byte Folded Reload
	v_add_co_u32_e32 v0, vcc, s5, v0
	s_waitcnt vmcnt(0)
	v_mul_f32_e32 v2, v4, v7
	v_fmac_f32_e32 v2, v3, v6
	v_mov_b32_e32 v5, v4
	v_mov_b32_e32 v4, v3
	v_cvt_f64_f32_e32 v[2:3], v2
	v_mul_f64 v[2:3], v[2:3], s[2:3]
	v_cvt_f32_f64_e32 v2, v[2:3]
	v_mul_f32_e32 v3, v5, v6
	v_fma_f32 v3, v4, v7, -v3
	v_cvt_f64_f32_e32 v[3:4], v3
	v_mul_f64 v[3:4], v[3:4], s[2:3]
	v_cvt_f32_f64_e32 v3, v[3:4]
	v_mov_b32_e32 v4, s4
	v_addc_co_u32_e32 v1, vcc, v1, v4, vcc
	global_store_dwordx2 v[0:1], v[2:3], off
	buffer_load_dword v3, off, s[24:27], 0 offset:48 ; 4-byte Folded Reload
	s_nop 0
	buffer_load_dword v4, off, s[24:27], 0 offset:52 ; 4-byte Folded Reload
	v_add_co_u32_e32 v0, vcc, s5, v0
	s_waitcnt vmcnt(0)
	v_mul_f32_e32 v2, v4, v11
	v_fmac_f32_e32 v2, v3, v10
	v_mov_b32_e32 v5, v4
	v_mov_b32_e32 v4, v3
	v_cvt_f64_f32_e32 v[2:3], v2
	v_mul_f64 v[2:3], v[2:3], s[2:3]
	v_cvt_f32_f64_e32 v2, v[2:3]
	v_mul_f32_e32 v3, v5, v10
	v_fma_f32 v3, v4, v11, -v3
	v_cvt_f64_f32_e32 v[3:4], v3
	v_mul_f64 v[3:4], v[3:4], s[2:3]
	;; [unrolled: 20-line block ×6, first 2 shown]
	v_cvt_f32_f64_e32 v3, v[3:4]
	v_mov_b32_e32 v4, s4
	v_addc_co_u32_e32 v1, vcc, v1, v4, vcc
	global_store_dwordx2 v[0:1], v[2:3], off
.LBB0_2:
	s_endpgm
	.section	.rodata,"a",@progbits
	.p2align	6, 0x0
	.amdhsa_kernel bluestein_single_back_len5488_dim1_sp_op_CI_CI
		.amdhsa_group_segment_fixed_size 43904
		.amdhsa_private_segment_fixed_size 344
		.amdhsa_kernarg_size 104
		.amdhsa_user_sgpr_count 6
		.amdhsa_user_sgpr_private_segment_buffer 1
		.amdhsa_user_sgpr_dispatch_ptr 0
		.amdhsa_user_sgpr_queue_ptr 0
		.amdhsa_user_sgpr_kernarg_segment_ptr 1
		.amdhsa_user_sgpr_dispatch_id 0
		.amdhsa_user_sgpr_flat_scratch_init 0
		.amdhsa_user_sgpr_private_segment_size 0
		.amdhsa_uses_dynamic_stack 0
		.amdhsa_system_sgpr_private_segment_wavefront_offset 1
		.amdhsa_system_sgpr_workgroup_id_x 1
		.amdhsa_system_sgpr_workgroup_id_y 0
		.amdhsa_system_sgpr_workgroup_id_z 0
		.amdhsa_system_sgpr_workgroup_info 0
		.amdhsa_system_vgpr_workitem_id 0
		.amdhsa_next_free_vgpr 256
		.amdhsa_next_free_sgpr 28
		.amdhsa_reserve_vcc 1
		.amdhsa_reserve_flat_scratch 0
		.amdhsa_float_round_mode_32 0
		.amdhsa_float_round_mode_16_64 0
		.amdhsa_float_denorm_mode_32 3
		.amdhsa_float_denorm_mode_16_64 3
		.amdhsa_dx10_clamp 1
		.amdhsa_ieee_mode 1
		.amdhsa_fp16_overflow 0
		.amdhsa_exception_fp_ieee_invalid_op 0
		.amdhsa_exception_fp_denorm_src 0
		.amdhsa_exception_fp_ieee_div_zero 0
		.amdhsa_exception_fp_ieee_overflow 0
		.amdhsa_exception_fp_ieee_underflow 0
		.amdhsa_exception_fp_ieee_inexact 0
		.amdhsa_exception_int_div_zero 0
	.end_amdhsa_kernel
	.text
.Lfunc_end0:
	.size	bluestein_single_back_len5488_dim1_sp_op_CI_CI, .Lfunc_end0-bluestein_single_back_len5488_dim1_sp_op_CI_CI
                                        ; -- End function
	.section	.AMDGPU.csdata,"",@progbits
; Kernel info:
; codeLenInByte = 29528
; NumSgprs: 32
; NumVgprs: 256
; ScratchSize: 344
; MemoryBound: 0
; FloatMode: 240
; IeeeMode: 1
; LDSByteSize: 43904 bytes/workgroup (compile time only)
; SGPRBlocks: 3
; VGPRBlocks: 63
; NumSGPRsForWavesPerEU: 32
; NumVGPRsForWavesPerEU: 256
; Occupancy: 1
; WaveLimiterHint : 1
; COMPUTE_PGM_RSRC2:SCRATCH_EN: 1
; COMPUTE_PGM_RSRC2:USER_SGPR: 6
; COMPUTE_PGM_RSRC2:TRAP_HANDLER: 0
; COMPUTE_PGM_RSRC2:TGID_X_EN: 1
; COMPUTE_PGM_RSRC2:TGID_Y_EN: 0
; COMPUTE_PGM_RSRC2:TGID_Z_EN: 0
; COMPUTE_PGM_RSRC2:TIDIG_COMP_CNT: 0
	.type	__hip_cuid_2fea789a8203d3f6,@object ; @__hip_cuid_2fea789a8203d3f6
	.section	.bss,"aw",@nobits
	.globl	__hip_cuid_2fea789a8203d3f6
__hip_cuid_2fea789a8203d3f6:
	.byte	0                               ; 0x0
	.size	__hip_cuid_2fea789a8203d3f6, 1

	.ident	"AMD clang version 19.0.0git (https://github.com/RadeonOpenCompute/llvm-project roc-6.4.0 25133 c7fe45cf4b819c5991fe208aaa96edf142730f1d)"
	.section	".note.GNU-stack","",@progbits
	.addrsig
	.addrsig_sym __hip_cuid_2fea789a8203d3f6
	.amdgpu_metadata
---
amdhsa.kernels:
  - .args:
      - .actual_access:  read_only
        .address_space:  global
        .offset:         0
        .size:           8
        .value_kind:     global_buffer
      - .actual_access:  read_only
        .address_space:  global
        .offset:         8
        .size:           8
        .value_kind:     global_buffer
      - .actual_access:  read_only
        .address_space:  global
        .offset:         16
        .size:           8
        .value_kind:     global_buffer
      - .actual_access:  read_only
        .address_space:  global
        .offset:         24
        .size:           8
        .value_kind:     global_buffer
      - .actual_access:  read_only
        .address_space:  global
        .offset:         32
        .size:           8
        .value_kind:     global_buffer
      - .offset:         40
        .size:           8
        .value_kind:     by_value
      - .address_space:  global
        .offset:         48
        .size:           8
        .value_kind:     global_buffer
      - .address_space:  global
        .offset:         56
        .size:           8
        .value_kind:     global_buffer
      - .address_space:  global
        .offset:         64
        .size:           8
        .value_kind:     global_buffer
      - .address_space:  global
        .offset:         72
        .size:           8
        .value_kind:     global_buffer
      - .offset:         80
        .size:           4
        .value_kind:     by_value
      - .address_space:  global
        .offset:         88
        .size:           8
        .value_kind:     global_buffer
      - .address_space:  global
        .offset:         96
        .size:           8
        .value_kind:     global_buffer
    .group_segment_fixed_size: 43904
    .kernarg_segment_align: 8
    .kernarg_segment_size: 104
    .language:       OpenCL C
    .language_version:
      - 2
      - 0
    .max_flat_workgroup_size: 196
    .name:           bluestein_single_back_len5488_dim1_sp_op_CI_CI
    .private_segment_fixed_size: 344
    .sgpr_count:     32
    .sgpr_spill_count: 0
    .symbol:         bluestein_single_back_len5488_dim1_sp_op_CI_CI.kd
    .uniform_work_group_size: 1
    .uses_dynamic_stack: false
    .vgpr_count:     256
    .vgpr_spill_count: 85
    .wavefront_size: 64
amdhsa.target:   amdgcn-amd-amdhsa--gfx906
amdhsa.version:
  - 1
  - 2
...

	.end_amdgpu_metadata
